;; amdgpu-corpus repo=ROCm/aiter kind=harvested arch=n/a opt=n/a

/root/src/amdgpu-assembly/repos/ROCm__aiter/hsa/gfx942/fmoe_b16.co:	file format elf64-amdgpu

Disassembly of section .text:

0000000000002b00 <fmoe_kernel_func>:
	s_and_b32 s1, s1, 0xffff                                   // 000000002B00: 8601FF01 0000FFFF
	s_load_dwordx2 s[8:9], s[0:1], 0x0                         // 000000002B08: C0060200 00000000
	s_load_dwordx2 s[16:17], s[0:1], 0x10                      // 000000002B10: C0060400 00000010
	s_load_dwordx2 s[20:21], s[0:1], 0x20                      // 000000002B18: C0060500 00000020
	s_load_dwordx2 s[32:33], s[0:1], 0x30                      // 000000002B20: C0060800 00000030
	s_load_dwordx2 s[12:13], s[0:1], 0x40                      // 000000002B28: C0060300 00000040
	s_load_dwordx2 s[28:29], s[0:1], 0x90                      // 000000002B30: C0060700 00000090
	s_load_dwordx2 s[24:25], s[0:1], 0xa0                      // 000000002B38: C0060600 000000A0
	s_load_dwordx2 s[30:31], s[0:1], 0xb0                      // 000000002B40: C0060780 000000B0
	s_load_dword s64, s[0:1], 0xc0                             // 000000002B48: C0021000 000000C0
	s_load_dword s65, s[0:1], 0xd0                             // 000000002B50: C0021040 000000D0
	s_load_dword s66, s[0:1], 0xe0                             // 000000002B58: C0021080 000000E0
	s_load_dword s67, s[0:1], 0xf0                             // 000000002B60: C00210C0 000000F0
	s_load_dword s68, s[0:1], 0x100                            // 000000002B68: C0021100 00000100
	s_load_dword s69, s[0:1], 0x110                            // 000000002B70: C0021140 00000110
	s_load_dword s70, s[0:1], 0x120                            // 000000002B78: C0021180 00000120
	s_load_dword s71, s[0:1], 0x130                            // 000000002B80: C00211C0 00000130
	s_load_dword s72, s[0:1], 0x140                            // 000000002B88: C0021200 00000140
	s_load_dword s73, s[0:1], 0x150                            // 000000002B90: C0021240 00000150
	v_lshrrev_b32_e32 v1, 10, v0                               // 000000002B98: 2002008A
	v_lshrrev_b32_e32 v2, 10, v1                               // 000000002B9C: 2004028A
	v_and_b32_e32 v2, 0x3ff, v2                                // 000000002BA0: 260404FF 000003FF
	v_and_b32_e32 v1, 0x3ff, v1                                // 000000002BA8: 260202FF 000003FF
	v_and_b32_e32 v0, 0x3ff, v0                                // 000000002BB0: 260000FF 000003FF
	v_lshrrev_b32_e32 v3, 6, v0                                // 000000002BB8: 20060086
	v_and_b32_e32 v0, 63, v0                                   // 000000002BBC: 260000BF
	s_mov_b32 s2, s2                                           // 000000002BC0: BE820002
	s_mov_b32 s3, s3                                           // 000000002BC4: BE830003
	s_mov_b32 s4, s4                                           // 000000002BC8: BE840004
	v_readfirstlane_b32 s7, v3                                 // 000000002BCC: 7E0E0503
	s_waitcnt lgkmcnt(0)                                       // 000000002BD0: BF8CC07F
	s_and_b32 s33, s33, 0xffff                                 // 000000002BD4: 8621FF21 0000FFFF
	s_load_dword s32, s[32:33], 0x0                            // 000000002BDC: C0020810 00000000
	s_and_b32 s29, s29, 0xffff                                 // 000000002BE4: 861DFF1D 0000FFFF
	s_and_b32 s31, s31, 0xffff                                 // 000000002BEC: 861FFF1F 0000FFFF
	s_and_b32 s9, s9, 0xffff                                   // 000000002BF4: 8609FF09 0000FFFF
	s_mul_i32 s60, s66, s68                                    // 000000002BFC: 923C4442
	s_mul_i32 s62, s66, s71                                    // 000000002C00: 923E4742
	s_mov_b32 s18, s60                                         // 000000002C04: BE92003C
	s_mov_b32 s22, 0x80000000                                  // 000000002C08: BE9600FF 80000000
	s_mov_b32 s14, 0x80000000                                  // 000000002C10: BE8E00FF 80000000
	s_mov_b32 s26, 0x80000000                                  // 000000002C18: BE9A00FF 80000000
	s_mov_b32 s19, 0x20000                                     // 000000002C20: BE9300FF 00020000
	s_mov_b32 s23, 0x20000                                     // 000000002C28: BE9700FF 00020000
	s_mov_b32 s15, 0x20000                                     // 000000002C30: BE8F00FF 00020000
	s_mov_b32 s27, 0x20000                                     // 000000002C38: BE9B00FF 00020000
	s_and_b32 s17, s17, 0xffff                                 // 000000002C40: 8611FF11 0000FFFF
	s_and_b32 s21, s21, 0xffff                                 // 000000002C48: 8615FF15 0000FFFF
	s_and_b32 s13, s13, 0xffff                                 // 000000002C50: 860DFF0D 0000FFFF
	s_and_b32 s25, s25, 0xffff                                 // 000000002C58: 8619FF19 0000FFFF
	s_or_b32 s17, s17, 0x40000                                 // 000000002C60: 8711FF11 00040000
	s_or_b32 s21, s21, 0x40000                                 // 000000002C68: 8715FF15 00040000
	s_or_b32 s13, s13, 0x40000                                 // 000000002C70: 870DFF0D 00040000
	s_or_b32 s25, s25, 0x40000                                 // 000000002C78: 8719FF19 00040000
	v_accvgpr_write_b32 a255, 0                                // 000000002C80: D3D940FF 18000080
	v_mov_b32_e32 v255, 0                                      // 000000002C88: 7FFE0280
	s_waitcnt lgkmcnt(0)                                       // 000000002C8C: BF8CC07F
	s_mul_i32 s60, s3, 32                                      // 000000002C90: 923CA003
	s_cmp_lt_i32 s60, s32                                      // 000000002C94: BF04203C
	s_cbranch_scc0 label_1C11                                  // 000000002C98: BF841BAA
	s_mov_b32 s80, 0                                           // 000000002C9C: BED00080
	s_mov_b32 s81, s64                                         // 000000002CA0: BED10040
	s_mul_i32 s60, s3, 4                                       // 000000002CA4: 923C8403
	s_add_u32 s30, s60, s30                                    // 000000002CA8: 801E1E3C
	s_addc_u32 s31, 0, s31                                     // 000000002CAC: 821F1F80
	s_load_dword s5, s[30:31], 0x0                             // 000000002CB0: C002014F 00000000
	s_mul_i32 s60, s3, 32                                      // 000000002CB8: 923CA003
	s_add_u32 s60, s7, s60                                     // 000000002CBC: 803C3C07
	s_mul_i32 s60, 4, s60                                      // 000000002CC0: 923C3C84
	s_add_u32 s28, s60, s28                                    // 000000002CC4: 801C1C3C
	s_addc_u32 s29, 0, s29                                     // 000000002CC8: 821D1D80
	s_load_dword s82, s[28:29], 0x0                            // 000000002CCC: C002148E 00000000
	s_load_dword s83, s[28:29], 0x10                           // 000000002CD4: C00214CE 00000010
	s_load_dword s84, s[28:29], 0x20                           // 000000002CDC: C002150E 00000020
	s_load_dword s85, s[28:29], 0x30                           // 000000002CE4: C002154E 00000030
	s_load_dword s86, s[28:29], 0x40                           // 000000002CEC: C002158E 00000040
	s_load_dword s87, s[28:29], 0x50                           // 000000002CF4: C00215CE 00000050
	s_load_dword s88, s[28:29], 0x60                           // 000000002CFC: C002160E 00000060
	s_load_dword s89, s[28:29], 0x70                           // 000000002D04: C002164E 00000070
	s_mul_i32 s60, s3, 32                                      // 000000002D0C: 923CA003
	s_mul_i32 s60, 4, s60                                      // 000000002D10: 923C3C84
	s_add_u32 s24, s60, s24                                    // 000000002D14: 8018183C
	s_addc_u32 s25, 0, s25                                     // 000000002D18: 82191980
	v_and_b32_e32 v54, 15, v0                                  // 000000002D1C: 266C008F
	v_lshlrev_b32_e32 v6, 2, v54                               // 000000002D20: 240C6C82
	v_add_u32_e32 v7, 64, v6                                   // 000000002D24: 680E0CC0
	buffer_load_dword v8, v6, s[24:27], 0 offen                // 000000002D28: E0501000 80060806
	buffer_load_dword v9, v7, s[24:27], 0 offen                // 000000002D30: E0501000 80060907
	s_waitcnt lgkmcnt(0)                                       // 000000002D38: BF8CC07F
	v_lshlrev_b32_e32 v54, 2, v0                               // 000000002D3C: 246C0082
	s_and_b32 s82, s82, 0xffffff                               // 000000002D40: 8652FF52 00FFFFFF
	s_mul_i32 s60, s82, s68                                    // 000000002D48: 923C4452
	v_add_u32_e64 v10, v54, s60                                // 000000002D4C: D134000A 00007936
	s_and_b32 s83, s83, 0xffffff                               // 000000002D54: 8653FF53 00FFFFFF
	s_mul_i32 s60, s83, s68                                    // 000000002D5C: 923C4453
	v_add_u32_e64 v11, v54, s60                                // 000000002D60: D134000B 00007936
	s_and_b32 s84, s84, 0xffffff                               // 000000002D68: 8654FF54 00FFFFFF
	s_mul_i32 s60, s84, s68                                    // 000000002D70: 923C4454
	v_add_u32_e64 v12, v54, s60                                // 000000002D74: D134000C 00007936
	s_and_b32 s85, s85, 0xffffff                               // 000000002D7C: 8655FF55 00FFFFFF
	s_mul_i32 s60, s85, s68                                    // 000000002D84: 923C4455
	v_add_u32_e64 v13, v54, s60                                // 000000002D88: D134000D 00007936
	s_and_b32 s86, s86, 0xffffff                               // 000000002D90: 8656FF56 00FFFFFF
	s_mul_i32 s60, s86, s68                                    // 000000002D98: 923C4456
	v_add_u32_e64 v14, v54, s60                                // 000000002D9C: D134000E 00007936
	s_and_b32 s87, s87, 0xffffff                               // 000000002DA4: 8657FF57 00FFFFFF
	s_mul_i32 s60, s87, s68                                    // 000000002DAC: 923C4457
	v_add_u32_e64 v15, v54, s60                                // 000000002DB0: D134000F 00007936
	s_and_b32 s88, s88, 0xffffff                               // 000000002DB8: 8658FF58 00FFFFFF
	s_mul_i32 s60, s88, s68                                    // 000000002DC0: 923C4458
	v_add_u32_e64 v16, v54, s60                                // 000000002DC4: D1340010 00007936
	s_and_b32 s89, s89, 0xffffff                               // 000000002DCC: 8659FF59 00FFFFFF
	s_mul_i32 s60, s89, s68                                    // 000000002DD4: 923C4459
	v_add_u32_e64 v17, v54, s60                                // 000000002DD8: D1340011 00007936
	v_lshlrev_b32_e32 v54, 2, v0                               // 000000002DE0: 246C0082
	s_mul_i32 s60, s82, s71                                    // 000000002DE4: 923C4752
	v_add_u32_e64 v34, v54, s60                                // 000000002DE8: D1340022 00007936
	v_mov_b32_e32 v35, 0                                       // 000000002DF0: 7E460280
	s_mul_i32 s60, s83, s71                                    // 000000002DF4: 923C4753
	v_add_u32_e64 v36, v54, s60                                // 000000002DF8: D1340024 00007936
	v_mov_b32_e32 v37, 0                                       // 000000002E00: 7E4A0280
	s_mul_i32 s60, s84, s71                                    // 000000002E04: 923C4754
	v_add_u32_e64 v38, v54, s60                                // 000000002E08: D1340026 00007936
	v_mov_b32_e32 v39, 0                                       // 000000002E10: 7E4E0280
	s_mul_i32 s60, s85, s71                                    // 000000002E14: 923C4755
	v_add_u32_e64 v40, v54, s60                                // 000000002E18: D1340028 00007936
	v_mov_b32_e32 v41, 0                                       // 000000002E20: 7E520280
	s_mul_i32 s60, s86, s71                                    // 000000002E24: 923C4756
	v_add_u32_e64 v42, v54, s60                                // 000000002E28: D134002A 00007936
	v_mov_b32_e32 v43, 0                                       // 000000002E30: 7E560280
	s_mul_i32 s60, s87, s71                                    // 000000002E34: 923C4757
	v_add_u32_e64 v44, v54, s60                                // 000000002E38: D134002C 00007936
	v_mov_b32_e32 v45, 0                                       // 000000002E40: 7E5A0280
	s_mul_i32 s60, s88, s71                                    // 000000002E44: 923C4758
	v_add_u32_e64 v46, v54, s60                                // 000000002E48: D134002E 00007936
	v_mov_b32_e32 v47, 0                                       // 000000002E50: 7E5E0280
	s_mul_i32 s60, s89, s71                                    // 000000002E54: 923C4759
	v_add_u32_e64 v48, v54, s60                                // 000000002E58: D1340030 00007936
	v_mov_b32_e32 v49, 0                                       // 000000002E60: 7E620280
	s_mul_i32 s60, s7, 0x820                                   // 000000002E64: 923CFF07 00000820
	s_add_u32 s36, 0, s60                                      // 000000002E6C: 80243C80
	s_add_u32 s37, 0x2080, s36                                 // 000000002E70: 802524FF 00002080
	v_lshrrev_b32_e32 v54, 4, v0                               // 000000002E78: 206C0084
	v_lshlrev_b32_e32 v55, 2, v54                              // 000000002E7C: 246E6C82
	v_and_b32_e32 v54, 15, v0                                  // 000000002E80: 266C008F
	v_lshrrev_b32_e32 v56, 2, v54                              // 000000002E84: 20706C82
	v_lshlrev_b32_e32 v56, 6, v56                              // 000000002E88: 24707086
	v_add_u32_e32 v55, v56, v55                                // 000000002E8C: 686E6F38
	v_and_b32_e32 v54, 3, v0                                   // 000000002E90: 266C0083
	v_mul_i32_i24_e32 v56, 0x208, v54                          // 000000002E94: 0C706CFF 00000208
	v_add_u32_e32 v55, v56, v55                                // 000000002E9C: 686E6F38
	v_lshlrev_b32_e32 v2, 2, v55                               // 000000002EA0: 24046E82
	s_mul_i32 s60, s2, 0x200                                   // 000000002EA4: 923CFF02 00000200
	s_mul_i32 s60, s60, s69                                    // 000000002EAC: 923C453C
	s_mul_i32 s61, s5, s72                                     // 000000002EB0: 923D4805
	s_add_u32 s60, s61, s60                                    // 000000002EB4: 803C3C3D
	s_add_u32 s20, s60, s20                                    // 000000002EB8: 8014143C
	s_addc_u32 s21, 0, s21                                     // 000000002EBC: 82151580
	s_mul_i32 s60, s7, 16                                      // 000000002EC0: 923C9007
	s_mul_i32 s60, s60, s69                                    // 000000002EC4: 923C453C
	v_lshlrev_b32_e32 v26, 4, v0                               // 000000002EC8: 24340084
	v_add_u32_e32 v26, s60, v26                                // 000000002ECC: 6834343C
	s_mul_i32 s60, 64, s69                                     // 000000002ED0: 923C45C0
	v_add_u32_e32 v27, s60, v26                                // 000000002ED4: 6836343C
	v_add_u32_e32 v28, s60, v27                                // 000000002ED8: 6838363C
	v_add_u32_e32 v29, s60, v28                                // 000000002EDC: 683A383C
	v_add_u32_e32 v30, s60, v29                                // 000000002EE0: 683C3A3C
	v_add_u32_e32 v31, s60, v30                                // 000000002EE4: 683E3C3C
	v_add_u32_e32 v32, s60, v31                                // 000000002EE8: 68403E3C
	v_add_u32_e32 v33, s60, v32                                // 000000002EEC: 6842403C
	s_mul_i32 s60, s2, 0x4000                                  // 000000002EF0: 923CFF02 00004000
	s_mul_i32 s61, s5, s73                                     // 000000002EF8: 923D4905
	s_add_u32 s60, s61, s60                                    // 000000002EFC: 803C3C3D
	s_add_u32 s12, s60, s12                                    // 000000002F00: 800C0C3C
	s_addc_u32 s13, 0, s13                                     // 000000002F04: 820D0D80
	s_mul_i32 s60, s7, 16                                      // 000000002F08: 923C9007
	s_mul_i32 s60, s60, s70                                    // 000000002F0C: 923C463C
	v_lshlrev_b32_e32 v18, 4, v0                               // 000000002F10: 24240084
	v_add_u32_e32 v18, s60, v18                                // 000000002F14: 6824243C
	s_mul_i32 s60, 64, s70                                     // 000000002F18: 923C46C0
	v_add_u32_e32 v19, s60, v18                                // 000000002F1C: 6826243C
	v_add_u32_e32 v20, 0x1000, v18                             // 000000002F20: 682824FF 00001000
	v_add_u32_e32 v21, 0x1000, v19                             // 000000002F28: 682A26FF 00001000
	v_add_u32_e32 v22, 0x1000, v20                             // 000000002F30: 682C28FF 00001000
	v_add_u32_e32 v23, 0x1000, v21                             // 000000002F38: 682E2AFF 00001000
	v_add_u32_e32 v24, 0x1000, v22                             // 000000002F40: 68302CFF 00001000
	v_add_u32_e32 v25, 0x1000, v23                             // 000000002F48: 68322EFF 00001000
	s_mul_i32 s56, s70, 0x80                                   // 000000002F50: 9238FF46 00000080
	s_mov_b32 s57, 0x100                                       // 000000002F58: BEB900FF 00000100
	s_mov_b32 s58, 0x1000                                      // 000000002F60: BEBA00FF 00001000
	s_mov_b32 s59, 0                                           // 000000002F68: BEBB0080
	s_mov_b32 s52, 0x7060302                                   // 000000002F6C: BEB400FF 07060302
	s_mov_b32 s6, 0x3fb8aa3b                                   // 000000002F74: BE8600FF 3FB8AA3B
	s_mov_b32 s77, 0xbd92220c                                  // 000000002F7C: BECD00FF BD92220C
	s_mov_b32 m0, s36                                          // 000000002F84: BEFC0024
	v_mov_b32_e32 v5, 0xbfcc4231                               // 000000002F88: 7E0A02FF BFCC4231
	v_mov_b32_e32 v51, 0xffff0000                              // 000000002F90: 7E6602FF FFFF0000
	v_mov_b32_e32 v52, 0x7fff0000                              // 000000002F98: 7E6802FF 7FFF0000
	v_mov_b32_e32 v53, 0x7fff                                  // 000000002FA0: 7E6A02FF 00007FFF
	buffer_load_dword v10, s[16:19], 0 offen lds               // 000000002FA8: E0511000 8004000A
	s_add_u32 m0, 0x100, s36                                   // 000000002FB0: 807C24FF 00000100
	buffer_load_dword v11, s[16:19], 0 offen lds               // 000000002FB8: E0511000 8004000B
	s_add_u32 m0, 0x200, s36                                   // 000000002FC0: 807C24FF 00000200
	buffer_load_dword v12, s[16:19], 0 offen lds               // 000000002FC8: E0511000 8004000C
	s_add_u32 m0, 0x300, s36                                   // 000000002FD0: 807C24FF 00000300
	buffer_load_dword v13, s[16:19], 0 offen lds               // 000000002FD8: E0511000 8004000D
	s_add_u32 m0, 0x400, s36                                   // 000000002FE0: 807C24FF 00000400
	buffer_load_dword v14, s[16:19], 0 offen lds               // 000000002FE8: E0511000 8004000E
	s_add_u32 m0, 0x500, s36                                   // 000000002FF0: 807C24FF 00000500
	buffer_load_dword v15, s[16:19], 0 offen lds               // 000000002FF8: E0511000 8004000F
	s_add_u32 m0, 0x600, s36                                   // 000000003000: 807C24FF 00000600
	buffer_load_dword v16, s[16:19], 0 offen lds               // 000000003008: E0511000 80040010
	s_add_u32 m0, 0x700, s36                                   // 000000003010: 807C24FF 00000700
	buffer_load_dword v17, s[16:19], 0 offen lds               // 000000003018: E0511000 80040011
	s_add_u32 m0, 0, s37                                       // 000000003020: 807C2580
	s_add_u32 s16, s57, s16                                    // 000000003024: 80101039
	s_addc_u32 s17, 0, s17                                     // 000000003028: 82111180
	buffer_load_dword v10, s[16:19], 0 offen lds               // 00000000302C: E0511000 8004000A
	s_add_u32 m0, 0x100, s37                                   // 000000003034: 807C25FF 00000100
	buffer_load_dword v11, s[16:19], 0 offen lds               // 00000000303C: E0511000 8004000B
	s_add_u32 m0, 0x200, s37                                   // 000000003044: 807C25FF 00000200
	buffer_load_dword v12, s[16:19], 0 offen lds               // 00000000304C: E0511000 8004000C
	s_add_u32 m0, 0x300, s37                                   // 000000003054: 807C25FF 00000300
	buffer_load_dword v13, s[16:19], 0 offen lds               // 00000000305C: E0511000 8004000D
	s_add_u32 m0, 0x400, s37                                   // 000000003064: 807C25FF 00000400
	buffer_load_dword v14, s[16:19], 0 offen lds               // 00000000306C: E0511000 8004000E
	s_add_u32 m0, 0x500, s37                                   // 000000003074: 807C25FF 00000500
	buffer_load_dword v15, s[16:19], 0 offen lds               // 00000000307C: E0511000 8004000F
	s_add_u32 m0, 0x600, s37                                   // 000000003084: 807C25FF 00000600
	buffer_load_dword v16, s[16:19], 0 offen lds               // 00000000308C: E0511000 80040010
	s_add_u32 m0, 0x700, s37                                   // 000000003094: 807C25FF 00000700
	buffer_load_dword v17, s[16:19], 0 offen lds               // 00000000309C: E0511000 80040011
	s_add_u32 m0, 0, s36                                       // 0000000030A4: 807C2480
	s_add_u32 s16, s57, s16                                    // 0000000030A8: 80101039
	s_addc_u32 s17, 0, s17                                     // 0000000030AC: 82111180
	buffer_load_dwordx4 a[0:3], v26, s[20:23], 0 offen         // 0000000030B0: E05C1000 8085001A
	buffer_load_dwordx4 a[4:7], v26, s[20:23], 0 offen offset:1024// 0000000030B8: E05C1400 8085041A
	buffer_load_dwordx4 a[8:11], v26, s[20:23], 0 offen offset:2048// 0000000030C0: E05C1800 8085081A
	buffer_load_dwordx4 a[12:15], v26, s[20:23], 0 offen offset:3072// 0000000030C8: E05C1C00 80850C1A
	buffer_load_dwordx4 a[16:19], v27, s[20:23], 0 offen       // 0000000030D0: E05C1000 8085101B
	buffer_load_dwordx4 a[20:23], v27, s[20:23], 0 offen offset:1024// 0000000030D8: E05C1400 8085141B
	buffer_load_dwordx4 a[24:27], v27, s[20:23], 0 offen offset:2048// 0000000030E0: E05C1800 8085181B
	buffer_load_dwordx4 a[28:31], v27, s[20:23], 0 offen offset:3072// 0000000030E8: E05C1C00 80851C1B
	buffer_load_dwordx4 a[32:35], v28, s[20:23], 0 offen       // 0000000030F0: E05C1000 8085201C
	buffer_load_dwordx4 a[36:39], v28, s[20:23], 0 offen offset:1024// 0000000030F8: E05C1400 8085241C
	buffer_load_dwordx4 a[40:43], v28, s[20:23], 0 offen offset:2048// 000000003100: E05C1800 8085281C
	buffer_load_dwordx4 a[44:47], v28, s[20:23], 0 offen offset:3072// 000000003108: E05C1C00 80852C1C
	buffer_load_dwordx4 a[48:51], v29, s[20:23], 0 offen       // 000000003110: E05C1000 8085301D
	buffer_load_dwordx4 a[52:55], v29, s[20:23], 0 offen offset:1024// 000000003118: E05C1400 8085341D
	buffer_load_dwordx4 a[56:59], v29, s[20:23], 0 offen offset:2048// 000000003120: E05C1800 8085381D
	buffer_load_dwordx4 a[60:63], v29, s[20:23], 0 offen offset:3072// 000000003128: E05C1C00 80853C1D
	buffer_load_dwordx4 a[64:67], v30, s[20:23], 0 offen       // 000000003130: E05C1000 8085401E
	buffer_load_dwordx4 a[68:71], v30, s[20:23], 0 offen offset:1024// 000000003138: E05C1400 8085441E
	buffer_load_dwordx4 a[72:75], v30, s[20:23], 0 offen offset:2048// 000000003140: E05C1800 8085481E
	buffer_load_dwordx4 a[76:79], v30, s[20:23], 0 offen offset:3072// 000000003148: E05C1C00 80854C1E
	buffer_load_dwordx4 a[80:83], v31, s[20:23], 0 offen       // 000000003150: E05C1000 8085501F
	buffer_load_dwordx4 a[84:87], v31, s[20:23], 0 offen offset:1024// 000000003158: E05C1400 8085541F
	buffer_load_dwordx4 a[88:91], v31, s[20:23], 0 offen offset:2048// 000000003160: E05C1800 8085581F
	buffer_load_dwordx4 a[92:95], v31, s[20:23], 0 offen offset:3072// 000000003168: E05C1C00 80855C1F
	buffer_load_dwordx4 a[96:99], v32, s[20:23], 0 offen       // 000000003170: E05C1000 80856020
	buffer_load_dwordx4 a[100:103], v32, s[20:23], 0 offen offset:1024// 000000003178: E05C1400 80856420
	buffer_load_dwordx4 a[104:107], v32, s[20:23], 0 offen offset:2048// 000000003180: E05C1800 80856820
	buffer_load_dwordx4 a[108:111], v32, s[20:23], 0 offen offset:3072// 000000003188: E05C1C00 80856C20
	buffer_load_dwordx4 a[112:115], v33, s[20:23], 0 offen     // 000000003190: E05C1000 80857021
	buffer_load_dwordx4 a[116:119], v33, s[20:23], 0 offen offset:1024// 000000003198: E05C1400 80857421
	buffer_load_dwordx4 a[120:123], v33, s[20:23], 0 offen offset:2048// 0000000031A0: E05C1800 80857821
	buffer_load_dwordx4 a[124:127], v33, s[20:23], 0 offen offset:3072// 0000000031A8: E05C1C00 80857C21
	s_add_u32 s20, s58, s20                                    // 0000000031B0: 8014143A
	s_addc_u32 s21, 0, s21                                     // 0000000031B4: 82151580
	v_mov_b32_e32 v128, 0                                      // 0000000031B8: 7F000280
	v_mov_b32_e32 v129, 0                                      // 0000000031BC: 7F020280
	v_mov_b32_e32 v130, 0                                      // 0000000031C0: 7F040280
	v_mov_b32_e32 v131, 0                                      // 0000000031C4: 7F060280
	v_mov_b32_e32 v132, 0                                      // 0000000031C8: 7F080280
	v_mov_b32_e32 v133, 0                                      // 0000000031CC: 7F0A0280
	v_mov_b32_e32 v134, 0                                      // 0000000031D0: 7F0C0280
	v_mov_b32_e32 v135, 0                                      // 0000000031D4: 7F0E0280
	v_mov_b32_e32 v136, 0                                      // 0000000031D8: 7F100280
	v_mov_b32_e32 v137, 0                                      // 0000000031DC: 7F120280
	v_mov_b32_e32 v138, 0                                      // 0000000031E0: 7F140280
	v_mov_b32_e32 v139, 0                                      // 0000000031E4: 7F160280
	v_mov_b32_e32 v140, 0                                      // 0000000031E8: 7F180280
	v_mov_b32_e32 v141, 0                                      // 0000000031EC: 7F1A0280
	v_mov_b32_e32 v142, 0                                      // 0000000031F0: 7F1C0280
	v_mov_b32_e32 v143, 0                                      // 0000000031F4: 7F1E0280
	v_mov_b32_e32 v144, 0                                      // 0000000031F8: 7F200280
	v_mov_b32_e32 v145, 0                                      // 0000000031FC: 7F220280
	v_mov_b32_e32 v146, 0                                      // 000000003200: 7F240280
	v_mov_b32_e32 v147, 0                                      // 000000003204: 7F260280
	v_mov_b32_e32 v148, 0                                      // 000000003208: 7F280280
	v_mov_b32_e32 v149, 0                                      // 00000000320C: 7F2A0280
	v_mov_b32_e32 v150, 0                                      // 000000003210: 7F2C0280
	v_mov_b32_e32 v151, 0                                      // 000000003214: 7F2E0280
	v_mov_b32_e32 v152, 0                                      // 000000003218: 7F300280
	v_mov_b32_e32 v153, 0                                      // 00000000321C: 7F320280
	v_mov_b32_e32 v154, 0                                      // 000000003220: 7F340280
	v_mov_b32_e32 v155, 0                                      // 000000003224: 7F360280
	v_mov_b32_e32 v156, 0                                      // 000000003228: 7F380280
	v_mov_b32_e32 v157, 0                                      // 00000000322C: 7F3A0280
	v_mov_b32_e32 v158, 0                                      // 000000003230: 7F3C0280
	v_mov_b32_e32 v159, 0                                      // 000000003234: 7F3E0280
	v_mov_b32_e32 v160, 0                                      // 000000003238: 7F400280
	v_mov_b32_e32 v161, 0                                      // 00000000323C: 7F420280
	v_mov_b32_e32 v162, 0                                      // 000000003240: 7F440280
	v_mov_b32_e32 v163, 0                                      // 000000003244: 7F460280
	v_mov_b32_e32 v164, 0                                      // 000000003248: 7F480280
	v_mov_b32_e32 v165, 0                                      // 00000000324C: 7F4A0280
	v_mov_b32_e32 v166, 0                                      // 000000003250: 7F4C0280
	v_mov_b32_e32 v167, 0                                      // 000000003254: 7F4E0280
	v_mov_b32_e32 v168, 0                                      // 000000003258: 7F500280
	v_mov_b32_e32 v169, 0                                      // 00000000325C: 7F520280
	v_mov_b32_e32 v170, 0                                      // 000000003260: 7F540280
	v_mov_b32_e32 v171, 0                                      // 000000003264: 7F560280
	v_mov_b32_e32 v172, 0                                      // 000000003268: 7F580280
	v_mov_b32_e32 v173, 0                                      // 00000000326C: 7F5A0280
	v_mov_b32_e32 v174, 0                                      // 000000003270: 7F5C0280
	v_mov_b32_e32 v175, 0                                      // 000000003274: 7F5E0280
	v_mov_b32_e32 v176, 0                                      // 000000003278: 7F600280
	v_mov_b32_e32 v177, 0                                      // 00000000327C: 7F620280
	v_mov_b32_e32 v178, 0                                      // 000000003280: 7F640280
	v_mov_b32_e32 v179, 0                                      // 000000003284: 7F660280
	v_mov_b32_e32 v180, 0                                      // 000000003288: 7F680280
	v_mov_b32_e32 v181, 0                                      // 00000000328C: 7F6A0280
	v_mov_b32_e32 v182, 0                                      // 000000003290: 7F6C0280
	v_mov_b32_e32 v183, 0                                      // 000000003294: 7F6E0280
	v_mov_b32_e32 v184, 0                                      // 000000003298: 7F700280
	v_mov_b32_e32 v185, 0                                      // 00000000329C: 7F720280
	v_mov_b32_e32 v186, 0                                      // 0000000032A0: 7F740280
	v_mov_b32_e32 v187, 0                                      // 0000000032A4: 7F760280
	v_mov_b32_e32 v188, 0                                      // 0000000032A8: 7F780280
	v_mov_b32_e32 v189, 0                                      // 0000000032AC: 7F7A0280
	v_mov_b32_e32 v190, 0                                      // 0000000032B0: 7F7C0280
	v_mov_b32_e32 v191, 0                                      // 0000000032B4: 7F7E0280
	v_lshrrev_b32_e32 v54, 4, v0                               // 0000000032B8: 206C0084
	v_mul_i32_i24_e32 v3, 34, v54                              // 0000000032BC: 0C066CA2
	v_and_b32_e32 v54, 15, v0                                  // 0000000032C0: 266C008F
	v_mul_i32_i24_e32 v55, 2, v54                              // 0000000032C4: 0C6E6C82
	v_add_u32_e32 v3, v55, v3                                  // 0000000032C8: 68060737
	s_mul_i32 s60, s7, 0x88                                    // 0000000032CC: 923CFF07 00000088
	v_add_u32_e32 v3, s60, v3                                  // 0000000032D4: 6806063C
	v_lshlrev_b32_e32 v3, 2, v3                                // 0000000032D8: 24060682
	v_lshrrev_b32_e32 v54, 1, v0                               // 0000000032DC: 206C0081
	v_mul_i32_i24_e32 v4, 34, v54                              // 0000000032E0: 0C086CA2
	v_and_b32_e32 v55, 1, v0                                   // 0000000032E4: 266E0081
	v_add_u32_e32 v4, v55, v4                                  // 0000000032E8: 68080937
	s_mul_i32 s60, s7, 2                                       // 0000000032EC: 923C8207
	v_add_u32_e32 v4, s60, v4                                  // 0000000032F0: 6808083C
	v_lshlrev_b32_e32 v4, 2, v4                                // 0000000032F4: 24080882
	s_waitcnt vmcnt(40)                                        // 0000000032F8: BF8C8F78
	s_barrier                                                  // 0000000032FC: BF8A0000
	ds_read_b128 v[64:67], v2                                  // 000000003300: D9FE0000 40000002
	ds_read_b128 v[68:71], v2 offset:64                        // 000000003308: D9FE0040 44000002
	ds_read_b128 v[72:75], v2 offset:128                       // 000000003310: D9FE0080 48000002
	ds_read_b128 v[76:79], v2 offset:192                       // 000000003318: D9FE00C0 4C000002
	ds_read_b128 v[80:83], v2 offset:1024                      // 000000003320: D9FE0400 50000002
	ds_read_b128 v[84:87], v2 offset:1088                      // 000000003328: D9FE0440 54000002
	ds_read_b128 v[88:91], v2 offset:1152                      // 000000003330: D9FE0480 58000002
	ds_read_b128 v[92:95], v2 offset:1216                      // 000000003338: D9FE04C0 5C000002
	s_cmp_lt_i32 s7, 2                                         // 000000003340: BF048207
	s_cbranch_scc0 label_0EDB                                  // 000000003344: BF840CC9

0000000000003348 <label_0212>:
	s_waitcnt vmcnt(24) lgkmcnt(0)                             // 000000003348: BF8C4078
	s_barrier                                                  // 00000000334C: BF8A0000
	v_mfma_f32_16x16x16_bf16 v[128:131], a[0:1], v[64:65], v[128:131]// 000000003350: D3E10080 0E028100
	v_mfma_f32_16x16x16_bf16 v[128:131], a[2:3], v[66:67], v[128:131]// 000000003358: D3E10080 0E028502
	buffer_load_dwordx4 a[128:131], v26, s[20:23], 0 offen     // 000000003360: E05C1000 8085801A
	v_mfma_f32_16x16x16_bf16 v[128:131], a[4:5], v[68:69], v[128:131]// 000000003368: D3E10080 0E028904
	v_mfma_f32_16x16x16_bf16 v[128:131], a[6:7], v[70:71], v[128:131]// 000000003370: D3E10080 0E028D06
	buffer_load_dword v10, s[16:19], 0 offen lds               // 000000003378: E0511000 8004000A
	s_add_u32 m0, 0x100, s36                                   // 000000003380: 807C24FF 00000100
	v_mfma_f32_16x16x16_bf16 v[128:131], a[8:9], v[72:73], v[128:131]// 000000003388: D3E10080 0E029108
	v_mfma_f32_16x16x16_bf16 v[128:131], a[10:11], v[74:75], v[128:131]// 000000003390: D3E10080 0E02950A
	buffer_load_dwordx4 a[132:135], v26, s[20:23], 0 offen offset:1024// 000000003398: E05C1400 8085841A
	v_mfma_f32_16x16x16_bf16 v[128:131], a[12:13], v[76:77], v[128:131]// 0000000033A0: D3E10080 0E02990C
	v_mfma_f32_16x16x16_bf16 v[128:131], a[14:15], v[78:79], v[128:131]// 0000000033A8: D3E10080 0E029D0E
	buffer_load_dword v11, s[16:19], 0 offen lds               // 0000000033B0: E0511000 8004000B
	s_add_u32 m0, 0x200, s36                                   // 0000000033B8: 807C24FF 00000200
	v_mfma_f32_16x16x16_bf16 v[132:135], a[0:1], v[80:81], v[132:135]// 0000000033C0: D3E10084 0E12A100
	v_mfma_f32_16x16x16_bf16 v[132:135], a[2:3], v[82:83], v[132:135]// 0000000033C8: D3E10084 0E12A502
	buffer_load_dwordx4 a[136:139], v26, s[20:23], 0 offen offset:2048// 0000000033D0: E05C1800 8085881A
	v_mfma_f32_16x16x16_bf16 v[132:135], a[4:5], v[84:85], v[132:135]// 0000000033D8: D3E10084 0E12A904
	v_mfma_f32_16x16x16_bf16 v[132:135], a[6:7], v[86:87], v[132:135]// 0000000033E0: D3E10084 0E12AD06
	buffer_load_dword v12, s[16:19], 0 offen lds               // 0000000033E8: E0511000 8004000C
	s_add_u32 m0, 0x300, s36                                   // 0000000033F0: 807C24FF 00000300
	v_mfma_f32_16x16x16_bf16 v[132:135], a[8:9], v[88:89], v[132:135]// 0000000033F8: D3E10084 0E12B108
	v_mfma_f32_16x16x16_bf16 v[132:135], a[10:11], v[90:91], v[132:135]// 000000003400: D3E10084 0E12B50A
	buffer_load_dwordx4 a[140:143], v26, s[20:23], 0 offen offset:3072// 000000003408: E05C1C00 80858C1A
	v_mfma_f32_16x16x16_bf16 v[132:135], a[12:13], v[92:93], v[132:135]// 000000003410: D3E10084 0E12B90C
	v_mfma_f32_16x16x16_bf16 v[132:135], a[14:15], v[94:95], v[132:135]// 000000003418: D3E10084 0E12BD0E
	buffer_load_dword v13, s[16:19], 0 offen lds               // 000000003420: E0511000 8004000D
	s_add_u32 m0, 0x400, s36                                   // 000000003428: 807C24FF 00000400
	v_mfma_f32_16x16x16_bf16 v[136:139], a[16:17], v[64:65], v[136:139]// 000000003430: D3E10088 0E228110
	v_mfma_f32_16x16x16_bf16 v[136:139], a[18:19], v[66:67], v[136:139]// 000000003438: D3E10088 0E228512
	buffer_load_dwordx4 a[144:147], v27, s[20:23], 0 offen     // 000000003440: E05C1000 8085901B
	v_mfma_f32_16x16x16_bf16 v[136:139], a[20:21], v[68:69], v[136:139]// 000000003448: D3E10088 0E228914
	v_mfma_f32_16x16x16_bf16 v[136:139], a[22:23], v[70:71], v[136:139]// 000000003450: D3E10088 0E228D16
	buffer_load_dword v14, s[16:19], 0 offen lds               // 000000003458: E0511000 8004000E
	s_add_u32 m0, 0x500, s36                                   // 000000003460: 807C24FF 00000500
	v_mfma_f32_16x16x16_bf16 v[136:139], a[24:25], v[72:73], v[136:139]// 000000003468: D3E10088 0E229118
	v_mfma_f32_16x16x16_bf16 v[136:139], a[26:27], v[74:75], v[136:139]// 000000003470: D3E10088 0E22951A
	buffer_load_dwordx4 a[148:151], v27, s[20:23], 0 offen offset:1024// 000000003478: E05C1400 8085941B
	v_mfma_f32_16x16x16_bf16 v[136:139], a[28:29], v[76:77], v[136:139]// 000000003480: D3E10088 0E22991C
	v_mfma_f32_16x16x16_bf16 v[136:139], a[30:31], v[78:79], v[136:139]// 000000003488: D3E10088 0E229D1E
	buffer_load_dword v15, s[16:19], 0 offen lds               // 000000003490: E0511000 8004000F
	s_add_u32 m0, 0x600, s36                                   // 000000003498: 807C24FF 00000600
	v_mfma_f32_16x16x16_bf16 v[140:143], a[16:17], v[80:81], v[140:143]// 0000000034A0: D3E1008C 0E32A110
	v_mfma_f32_16x16x16_bf16 v[140:143], a[18:19], v[82:83], v[140:143]// 0000000034A8: D3E1008C 0E32A512
	buffer_load_dwordx4 a[152:155], v27, s[20:23], 0 offen offset:2048// 0000000034B0: E05C1800 8085981B
	v_mfma_f32_16x16x16_bf16 v[140:143], a[20:21], v[84:85], v[140:143]// 0000000034B8: D3E1008C 0E32A914
	v_mfma_f32_16x16x16_bf16 v[140:143], a[22:23], v[86:87], v[140:143]// 0000000034C0: D3E1008C 0E32AD16
	buffer_load_dword v16, s[16:19], 0 offen lds               // 0000000034C8: E0511000 80040010
	s_add_u32 m0, 0x700, s36                                   // 0000000034D0: 807C24FF 00000700
	v_mfma_f32_16x16x16_bf16 v[140:143], a[24:25], v[88:89], v[140:143]// 0000000034D8: D3E1008C 0E32B118
	v_mfma_f32_16x16x16_bf16 v[140:143], a[26:27], v[90:91], v[140:143]// 0000000034E0: D3E1008C 0E32B51A
	buffer_load_dwordx4 a[156:159], v27, s[20:23], 0 offen offset:3072// 0000000034E8: E05C1C00 80859C1B
	v_mfma_f32_16x16x16_bf16 v[140:143], a[28:29], v[92:93], v[140:143]// 0000000034F0: D3E1008C 0E32B91C
	v_mfma_f32_16x16x16_bf16 v[140:143], a[30:31], v[94:95], v[140:143]// 0000000034F8: D3E1008C 0E32BD1E
	buffer_load_dword v17, s[16:19], 0 offen lds               // 000000003500: E0511000 80040011
	s_add_u32 m0, 0, s37                                       // 000000003508: 807C2580
	s_waitcnt vmcnt(32)                                        // 00000000350C: BF8C8F70
	v_mfma_f32_16x16x16_bf16 v[144:147], a[32:33], v[64:65], v[144:147]// 000000003510: D3E10090 0E428120
	v_mfma_f32_16x16x16_bf16 v[144:147], a[34:35], v[66:67], v[144:147]// 000000003518: D3E10090 0E428522
	buffer_load_dwordx4 a[160:163], v28, s[20:23], 0 offen     // 000000003520: E05C1000 8085A01C
	v_mfma_f32_16x16x16_bf16 v[144:147], a[36:37], v[68:69], v[144:147]// 000000003528: D3E10090 0E428924
	v_mfma_f32_16x16x16_bf16 v[144:147], a[38:39], v[70:71], v[144:147]// 000000003530: D3E10090 0E428D26
	ds_read_b128 v[96:99], v2 offset:8320                      // 000000003538: D9FE2080 60000002
	v_mfma_f32_16x16x16_bf16 v[144:147], a[40:41], v[72:73], v[144:147]// 000000003540: D3E10090 0E429128
	v_mfma_f32_16x16x16_bf16 v[144:147], a[42:43], v[74:75], v[144:147]// 000000003548: D3E10090 0E42952A
	buffer_load_dwordx4 a[164:167], v28, s[20:23], 0 offen offset:1024// 000000003550: E05C1400 8085A41C
	v_mfma_f32_16x16x16_bf16 v[144:147], a[44:45], v[76:77], v[144:147]// 000000003558: D3E10090 0E42992C
	v_mfma_f32_16x16x16_bf16 v[144:147], a[46:47], v[78:79], v[144:147]// 000000003560: D3E10090 0E429D2E
	ds_read_b128 v[100:103], v2 offset:8384                    // 000000003568: D9FE20C0 64000002
	v_mfma_f32_16x16x16_bf16 v[148:151], a[32:33], v[80:81], v[148:151]// 000000003570: D3E10094 0E52A120
	v_mfma_f32_16x16x16_bf16 v[148:151], a[34:35], v[82:83], v[148:151]// 000000003578: D3E10094 0E52A522
	buffer_load_dwordx4 a[168:171], v28, s[20:23], 0 offen offset:2048// 000000003580: E05C1800 8085A81C
	v_mfma_f32_16x16x16_bf16 v[148:151], a[36:37], v[84:85], v[148:151]// 000000003588: D3E10094 0E52A924
	v_mfma_f32_16x16x16_bf16 v[148:151], a[38:39], v[86:87], v[148:151]// 000000003590: D3E10094 0E52AD26
	ds_read_b128 v[104:107], v2 offset:8448                    // 000000003598: D9FE2100 68000002
	v_mfma_f32_16x16x16_bf16 v[148:151], a[40:41], v[88:89], v[148:151]// 0000000035A0: D3E10094 0E52B128
	v_mfma_f32_16x16x16_bf16 v[148:151], a[42:43], v[90:91], v[148:151]// 0000000035A8: D3E10094 0E52B52A
	buffer_load_dwordx4 a[172:175], v28, s[20:23], 0 offen offset:3072// 0000000035B0: E05C1C00 8085AC1C
	v_mfma_f32_16x16x16_bf16 v[148:151], a[44:45], v[92:93], v[148:151]// 0000000035B8: D3E10094 0E52B92C
	v_mfma_f32_16x16x16_bf16 v[148:151], a[46:47], v[94:95], v[148:151]// 0000000035C0: D3E10094 0E52BD2E
	ds_read_b128 v[108:111], v2 offset:8512                    // 0000000035C8: D9FE2140 6C000002
	v_mfma_f32_16x16x16_bf16 v[152:155], a[48:49], v[64:65], v[152:155]// 0000000035D0: D3E10098 0E628130
	v_mfma_f32_16x16x16_bf16 v[152:155], a[50:51], v[66:67], v[152:155]// 0000000035D8: D3E10098 0E628532
	buffer_load_dwordx4 a[176:179], v29, s[20:23], 0 offen     // 0000000035E0: E05C1000 8085B01D
	v_mfma_f32_16x16x16_bf16 v[152:155], a[52:53], v[68:69], v[152:155]// 0000000035E8: D3E10098 0E628934
	v_mfma_f32_16x16x16_bf16 v[152:155], a[54:55], v[70:71], v[152:155]// 0000000035F0: D3E10098 0E628D36
	ds_read_b128 v[112:115], v2 offset:9344                    // 0000000035F8: D9FE2480 70000002
	v_mfma_f32_16x16x16_bf16 v[152:155], a[56:57], v[72:73], v[152:155]// 000000003600: D3E10098 0E629138
	v_mfma_f32_16x16x16_bf16 v[152:155], a[58:59], v[74:75], v[152:155]// 000000003608: D3E10098 0E62953A
	buffer_load_dwordx4 a[180:183], v29, s[20:23], 0 offen offset:1024// 000000003610: E05C1400 8085B41D
	v_mfma_f32_16x16x16_bf16 v[152:155], a[60:61], v[76:77], v[152:155]// 000000003618: D3E10098 0E62993C
	v_mfma_f32_16x16x16_bf16 v[152:155], a[62:63], v[78:79], v[152:155]// 000000003620: D3E10098 0E629D3E
	ds_read_b128 v[116:119], v2 offset:9408                    // 000000003628: D9FE24C0 74000002
	v_mfma_f32_16x16x16_bf16 v[156:159], a[48:49], v[80:81], v[156:159]// 000000003630: D3E1009C 0E72A130
	v_mfma_f32_16x16x16_bf16 v[156:159], a[50:51], v[82:83], v[156:159]// 000000003638: D3E1009C 0E72A532
	buffer_load_dwordx4 a[184:187], v29, s[20:23], 0 offen offset:2048// 000000003640: E05C1800 8085B81D
	v_mfma_f32_16x16x16_bf16 v[156:159], a[52:53], v[84:85], v[156:159]// 000000003648: D3E1009C 0E72A934
	v_mfma_f32_16x16x16_bf16 v[156:159], a[54:55], v[86:87], v[156:159]// 000000003650: D3E1009C 0E72AD36
	ds_read_b128 v[120:123], v2 offset:9472                    // 000000003658: D9FE2500 78000002
	v_mfma_f32_16x16x16_bf16 v[156:159], a[56:57], v[88:89], v[156:159]// 000000003660: D3E1009C 0E72B138
	v_mfma_f32_16x16x16_bf16 v[156:159], a[58:59], v[90:91], v[156:159]// 000000003668: D3E1009C 0E72B53A
	buffer_load_dwordx4 a[188:191], v29, s[20:23], 0 offen offset:3072// 000000003670: E05C1C00 8085BC1D
	v_mfma_f32_16x16x16_bf16 v[156:159], a[60:61], v[92:93], v[156:159]// 000000003678: D3E1009C 0E72B93C
	v_mfma_f32_16x16x16_bf16 v[156:159], a[62:63], v[94:95], v[156:159]// 000000003680: D3E1009C 0E72BD3E
	ds_read_b128 v[124:127], v2 offset:9536                    // 000000003688: D9FE2540 7C000002
	s_waitcnt vmcnt(32)                                        // 000000003690: BF8C8F70
	v_mfma_f32_16x16x16_bf16 v[160:163], a[64:65], v[64:65], v[160:163]// 000000003694: D3E100A0 0E828140
	v_mfma_f32_16x16x16_bf16 v[160:163], a[66:67], v[66:67], v[160:163]// 00000000369C: D3E100A0 0E828542
	buffer_load_dwordx4 a[192:195], v30, s[20:23], 0 offen     // 0000000036A4: E05C1000 8085C01E
	v_mfma_f32_16x16x16_bf16 v[160:163], a[68:69], v[68:69], v[160:163]// 0000000036AC: D3E100A0 0E828944
	s_add_u32 s60, 0x180, s80                                  // 0000000036B4: 803C50FF 00000180
	s_cmp_lt_u32 s60, s81                                      // 0000000036BC: BF0A513C
	s_cselect_b32 s57, s57, 0                                  // 0000000036C0: 85398039
	v_mfma_f32_16x16x16_bf16 v[160:163], a[70:71], v[70:71], v[160:163]// 0000000036C4: D3E100A0 0E828D46
	v_mfma_f32_16x16x16_bf16 v[160:163], a[72:73], v[72:73], v[160:163]// 0000000036CC: D3E100A0 0E829148
	v_mfma_f32_16x16x16_bf16 v[160:163], a[74:75], v[74:75], v[160:163]// 0000000036D4: D3E100A0 0E82954A
	buffer_load_dwordx4 a[196:199], v30, s[20:23], 0 offen offset:1024// 0000000036DC: E05C1400 8085C41E
	v_mfma_f32_16x16x16_bf16 v[160:163], a[76:77], v[76:77], v[160:163]// 0000000036E4: D3E100A0 0E82994C
	s_add_u32 s60, 0x100, s80                                  // 0000000036EC: 803C50FF 00000100
	s_cmp_lt_u32 s60, s81                                      // 0000000036F4: BF0A513C
	s_cselect_b32 s58, s58, 0                                  // 0000000036F8: 853A803A
	v_mfma_f32_16x16x16_bf16 v[160:163], a[78:79], v[78:79], v[160:163]// 0000000036FC: D3E100A0 0E829D4E
	v_mfma_f32_16x16x16_bf16 v[164:167], a[64:65], v[80:81], v[164:167]// 000000003704: D3E100A4 0E92A140
	v_mfma_f32_16x16x16_bf16 v[164:167], a[66:67], v[82:83], v[164:167]// 00000000370C: D3E100A4 0E92A542
	buffer_load_dwordx4 a[200:203], v30, s[20:23], 0 offen offset:2048// 000000003714: E05C1800 8085C81E
	v_mfma_f32_16x16x16_bf16 v[164:167], a[68:69], v[84:85], v[164:167]// 00000000371C: D3E100A4 0E92A944
	s_add_u32 s16, s57, s16                                    // 000000003724: 80101039
	s_addc_u32 s17, 0, s17                                     // 000000003728: 82111180
	v_mfma_f32_16x16x16_bf16 v[164:167], a[70:71], v[86:87], v[164:167]// 00000000372C: D3E100A4 0E92AD46
	v_mfma_f32_16x16x16_bf16 v[164:167], a[72:73], v[88:89], v[164:167]// 000000003734: D3E100A4 0E92B148
	v_mfma_f32_16x16x16_bf16 v[164:167], a[74:75], v[90:91], v[164:167]// 00000000373C: D3E100A4 0E92B54A
	buffer_load_dwordx4 a[204:207], v30, s[20:23], 0 offen offset:3072// 000000003744: E05C1C00 8085CC1E
	v_mfma_f32_16x16x16_bf16 v[164:167], a[76:77], v[92:93], v[164:167]// 00000000374C: D3E100A4 0E92B94C
	v_mfma_f32_16x16x16_bf16 v[164:167], a[78:79], v[94:95], v[164:167]// 000000003754: D3E100A4 0E92BD4E
	v_mfma_f32_16x16x16_bf16 v[168:171], a[80:81], v[64:65], v[168:171]// 00000000375C: D3E100A8 0EA28150
	v_mfma_f32_16x16x16_bf16 v[168:171], a[82:83], v[66:67], v[168:171]// 000000003764: D3E100A8 0EA28552
	buffer_load_dwordx4 a[208:211], v31, s[20:23], 0 offen     // 00000000376C: E05C1000 8085D01F
	v_mfma_f32_16x16x16_bf16 v[168:171], a[84:85], v[68:69], v[168:171]// 000000003774: D3E100A8 0EA28954
	v_mfma_f32_16x16x16_bf16 v[168:171], a[86:87], v[70:71], v[168:171]// 00000000377C: D3E100A8 0EA28D56
	v_mfma_f32_16x16x16_bf16 v[168:171], a[88:89], v[72:73], v[168:171]// 000000003784: D3E100A8 0EA29158
	v_mfma_f32_16x16x16_bf16 v[168:171], a[90:91], v[74:75], v[168:171]// 00000000378C: D3E100A8 0EA2955A
	buffer_load_dwordx4 a[212:215], v31, s[20:23], 0 offen offset:1024// 000000003794: E05C1400 8085D41F
	v_mfma_f32_16x16x16_bf16 v[168:171], a[92:93], v[76:77], v[168:171]// 00000000379C: D3E100A8 0EA2995C
	v_mfma_f32_16x16x16_bf16 v[168:171], a[94:95], v[78:79], v[168:171]// 0000000037A4: D3E100A8 0EA29D5E
	v_mfma_f32_16x16x16_bf16 v[172:175], a[80:81], v[80:81], v[172:175]// 0000000037AC: D3E100AC 0EB2A150
	v_mfma_f32_16x16x16_bf16 v[172:175], a[82:83], v[82:83], v[172:175]// 0000000037B4: D3E100AC 0EB2A552
	buffer_load_dwordx4 a[216:219], v31, s[20:23], 0 offen offset:2048// 0000000037BC: E05C1800 8085D81F
	v_mfma_f32_16x16x16_bf16 v[172:175], a[84:85], v[84:85], v[172:175]// 0000000037C4: D3E100AC 0EB2A954
	v_mfma_f32_16x16x16_bf16 v[172:175], a[86:87], v[86:87], v[172:175]// 0000000037CC: D3E100AC 0EB2AD56
	v_mfma_f32_16x16x16_bf16 v[172:175], a[88:89], v[88:89], v[172:175]// 0000000037D4: D3E100AC 0EB2B158
	v_mfma_f32_16x16x16_bf16 v[172:175], a[90:91], v[90:91], v[172:175]// 0000000037DC: D3E100AC 0EB2B55A
	buffer_load_dwordx4 a[220:223], v31, s[20:23], 0 offen offset:3072// 0000000037E4: E05C1C00 8085DC1F
	v_mfma_f32_16x16x16_bf16 v[172:175], a[92:93], v[92:93], v[172:175]// 0000000037EC: D3E100AC 0EB2B95C
	v_mfma_f32_16x16x16_bf16 v[172:175], a[94:95], v[94:95], v[172:175]// 0000000037F4: D3E100AC 0EB2BD5E
	s_waitcnt vmcnt(32)                                        // 0000000037FC: BF8C8F70
	v_mfma_f32_16x16x16_bf16 v[176:179], a[96:97], v[64:65], v[176:179]// 000000003800: D3E100B0 0EC28160
	v_mfma_f32_16x16x16_bf16 v[176:179], a[98:99], v[66:67], v[176:179]// 000000003808: D3E100B0 0EC28562
	buffer_load_dwordx4 a[224:227], v32, s[20:23], 0 offen     // 000000003810: E05C1000 8085E020
	v_mfma_f32_16x16x16_bf16 v[176:179], a[100:101], v[68:69], v[176:179]// 000000003818: D3E100B0 0EC28964
	v_mfma_f32_16x16x16_bf16 v[176:179], a[102:103], v[70:71], v[176:179]// 000000003820: D3E100B0 0EC28D66
	v_mfma_f32_16x16x16_bf16 v[176:179], a[104:105], v[72:73], v[176:179]// 000000003828: D3E100B0 0EC29168
	v_mfma_f32_16x16x16_bf16 v[176:179], a[106:107], v[74:75], v[176:179]// 000000003830: D3E100B0 0EC2956A
	buffer_load_dwordx4 a[228:231], v32, s[20:23], 0 offen offset:1024// 000000003838: E05C1400 8085E420
	v_mfma_f32_16x16x16_bf16 v[176:179], a[108:109], v[76:77], v[176:179]// 000000003840: D3E100B0 0EC2996C
	v_mfma_f32_16x16x16_bf16 v[176:179], a[110:111], v[78:79], v[176:179]// 000000003848: D3E100B0 0EC29D6E
	v_mfma_f32_16x16x16_bf16 v[180:183], a[96:97], v[80:81], v[180:183]// 000000003850: D3E100B4 0ED2A160
	v_mfma_f32_16x16x16_bf16 v[180:183], a[98:99], v[82:83], v[180:183]// 000000003858: D3E100B4 0ED2A562
	buffer_load_dwordx4 a[232:235], v32, s[20:23], 0 offen offset:2048// 000000003860: E05C1800 8085E820
	v_mfma_f32_16x16x16_bf16 v[180:183], a[100:101], v[84:85], v[180:183]// 000000003868: D3E100B4 0ED2A964
	v_mfma_f32_16x16x16_bf16 v[180:183], a[102:103], v[86:87], v[180:183]// 000000003870: D3E100B4 0ED2AD66
	v_mfma_f32_16x16x16_bf16 v[180:183], a[104:105], v[88:89], v[180:183]// 000000003878: D3E100B4 0ED2B168
	v_mfma_f32_16x16x16_bf16 v[180:183], a[106:107], v[90:91], v[180:183]// 000000003880: D3E100B4 0ED2B56A
	buffer_load_dwordx4 a[236:239], v32, s[20:23], 0 offen offset:3072// 000000003888: E05C1C00 8085EC20
	v_mfma_f32_16x16x16_bf16 v[180:183], a[108:109], v[92:93], v[180:183]// 000000003890: D3E100B4 0ED2B96C
	v_mfma_f32_16x16x16_bf16 v[180:183], a[110:111], v[94:95], v[180:183]// 000000003898: D3E100B4 0ED2BD6E
	v_mfma_f32_16x16x16_bf16 v[184:187], a[112:113], v[64:65], v[184:187]// 0000000038A0: D3E100B8 0EE28170
	v_mfma_f32_16x16x16_bf16 v[184:187], a[114:115], v[66:67], v[184:187]// 0000000038A8: D3E100B8 0EE28572
	buffer_load_dwordx4 a[240:243], v33, s[20:23], 0 offen     // 0000000038B0: E05C1000 8085F021
	v_mfma_f32_16x16x16_bf16 v[184:187], a[116:117], v[68:69], v[184:187]// 0000000038B8: D3E100B8 0EE28974
	v_mfma_f32_16x16x16_bf16 v[184:187], a[118:119], v[70:71], v[184:187]// 0000000038C0: D3E100B8 0EE28D76
	v_mfma_f32_16x16x16_bf16 v[184:187], a[120:121], v[72:73], v[184:187]// 0000000038C8: D3E100B8 0EE29178
	v_mfma_f32_16x16x16_bf16 v[184:187], a[122:123], v[74:75], v[184:187]// 0000000038D0: D3E100B8 0EE2957A
	buffer_load_dwordx4 a[244:247], v33, s[20:23], 0 offen offset:1024// 0000000038D8: E05C1400 8085F421
	v_mfma_f32_16x16x16_bf16 v[184:187], a[124:125], v[76:77], v[184:187]// 0000000038E0: D3E100B8 0EE2997C
	v_mfma_f32_16x16x16_bf16 v[184:187], a[126:127], v[78:79], v[184:187]// 0000000038E8: D3E100B8 0EE29D7E
	v_mfma_f32_16x16x16_bf16 v[188:191], a[112:113], v[80:81], v[188:191]// 0000000038F0: D3E100BC 0EF2A170
	v_mfma_f32_16x16x16_bf16 v[188:191], a[114:115], v[82:83], v[188:191]// 0000000038F8: D3E100BC 0EF2A572
	buffer_load_dwordx4 a[248:251], v33, s[20:23], 0 offen offset:2048// 000000003900: E05C1800 8085F821
	v_mfma_f32_16x16x16_bf16 v[188:191], a[116:117], v[84:85], v[188:191]// 000000003908: D3E100BC 0EF2A974
	v_mfma_f32_16x16x16_bf16 v[188:191], a[118:119], v[86:87], v[188:191]// 000000003910: D3E100BC 0EF2AD76
	v_mfma_f32_16x16x16_bf16 v[188:191], a[120:121], v[88:89], v[188:191]// 000000003918: D3E100BC 0EF2B178
	v_mfma_f32_16x16x16_bf16 v[188:191], a[122:123], v[90:91], v[188:191]// 000000003920: D3E100BC 0EF2B57A
	buffer_load_dwordx4 a[252:255], v33, s[20:23], 0 offen offset:3072// 000000003928: E05C1C00 8085FC21
	v_mfma_f32_16x16x16_bf16 v[188:191], a[124:125], v[92:93], v[188:191]// 000000003930: D3E100BC 0EF2B97C
	s_add_u32 s20, s58, s20                                    // 000000003938: 8014143A
	s_addc_u32 s21, 0, s21                                     // 00000000393C: 82151580
	v_mfma_f32_16x16x16_bf16 v[188:191], a[126:127], v[94:95], v[188:191]// 000000003940: D3E100BC 0EF2BD7E
	s_addk_i32 s80, 0x80                                       // 000000003948: B7500080
	s_cmp_lt_i32 s80, s81                                      // 00000000394C: BF045150
	s_cbranch_scc0 label_0519                                  // 000000003950: BF840184
	s_waitcnt vmcnt(24) lgkmcnt(0)                             // 000000003954: BF8C4078
	s_barrier                                                  // 000000003958: BF8A0000
	v_mfma_f32_16x16x16_bf16 v[128:131], a[128:129], v[96:97], v[128:131]// 00000000395C: D3E10080 0E02C180
	v_mfma_f32_16x16x16_bf16 v[128:131], a[130:131], v[98:99], v[128:131]// 000000003964: D3E10080 0E02C582
	buffer_load_dwordx4 a[0:3], v26, s[20:23], 0 offen         // 00000000396C: E05C1000 8085001A
	v_mfma_f32_16x16x16_bf16 v[128:131], a[132:133], v[100:101], v[128:131]// 000000003974: D3E10080 0E02C984
	v_mfma_f32_16x16x16_bf16 v[128:131], a[134:135], v[102:103], v[128:131]// 00000000397C: D3E10080 0E02CD86
	buffer_load_dword v10, s[16:19], 0 offen lds               // 000000003984: E0511000 8004000A
	s_add_u32 m0, 0x100, s37                                   // 00000000398C: 807C25FF 00000100
	v_mfma_f32_16x16x16_bf16 v[128:131], a[136:137], v[104:105], v[128:131]// 000000003994: D3E10080 0E02D188
	v_mfma_f32_16x16x16_bf16 v[128:131], a[138:139], v[106:107], v[128:131]// 00000000399C: D3E10080 0E02D58A
	buffer_load_dwordx4 a[4:7], v26, s[20:23], 0 offen offset:1024// 0000000039A4: E05C1400 8085041A
	v_mfma_f32_16x16x16_bf16 v[128:131], a[140:141], v[108:109], v[128:131]// 0000000039AC: D3E10080 0E02D98C
	v_mfma_f32_16x16x16_bf16 v[128:131], a[142:143], v[110:111], v[128:131]// 0000000039B4: D3E10080 0E02DD8E
	buffer_load_dword v11, s[16:19], 0 offen lds               // 0000000039BC: E0511000 8004000B
	s_add_u32 m0, 0x200, s37                                   // 0000000039C4: 807C25FF 00000200
	v_mfma_f32_16x16x16_bf16 v[132:135], a[128:129], v[112:113], v[132:135]// 0000000039CC: D3E10084 0E12E180
	v_mfma_f32_16x16x16_bf16 v[132:135], a[130:131], v[114:115], v[132:135]// 0000000039D4: D3E10084 0E12E582
	buffer_load_dwordx4 a[8:11], v26, s[20:23], 0 offen offset:2048// 0000000039DC: E05C1800 8085081A
	v_mfma_f32_16x16x16_bf16 v[132:135], a[132:133], v[116:117], v[132:135]// 0000000039E4: D3E10084 0E12E984
	v_mfma_f32_16x16x16_bf16 v[132:135], a[134:135], v[118:119], v[132:135]// 0000000039EC: D3E10084 0E12ED86
	buffer_load_dword v12, s[16:19], 0 offen lds               // 0000000039F4: E0511000 8004000C
	s_add_u32 m0, 0x300, s37                                   // 0000000039FC: 807C25FF 00000300
	v_mfma_f32_16x16x16_bf16 v[132:135], a[136:137], v[120:121], v[132:135]// 000000003A04: D3E10084 0E12F188
	v_mfma_f32_16x16x16_bf16 v[132:135], a[138:139], v[122:123], v[132:135]// 000000003A0C: D3E10084 0E12F58A
	buffer_load_dwordx4 a[12:15], v26, s[20:23], 0 offen offset:3072// 000000003A14: E05C1C00 80850C1A
	v_mfma_f32_16x16x16_bf16 v[132:135], a[140:141], v[124:125], v[132:135]// 000000003A1C: D3E10084 0E12F98C
	v_mfma_f32_16x16x16_bf16 v[132:135], a[142:143], v[126:127], v[132:135]// 000000003A24: D3E10084 0E12FD8E
	buffer_load_dword v13, s[16:19], 0 offen lds               // 000000003A2C: E0511000 8004000D
	s_add_u32 m0, 0x400, s37                                   // 000000003A34: 807C25FF 00000400
	v_mfma_f32_16x16x16_bf16 v[136:139], a[144:145], v[96:97], v[136:139]// 000000003A3C: D3E10088 0E22C190
	v_mfma_f32_16x16x16_bf16 v[136:139], a[146:147], v[98:99], v[136:139]// 000000003A44: D3E10088 0E22C592
	buffer_load_dwordx4 a[16:19], v27, s[20:23], 0 offen       // 000000003A4C: E05C1000 8085101B
	v_mfma_f32_16x16x16_bf16 v[136:139], a[148:149], v[100:101], v[136:139]// 000000003A54: D3E10088 0E22C994
	v_mfma_f32_16x16x16_bf16 v[136:139], a[150:151], v[102:103], v[136:139]// 000000003A5C: D3E10088 0E22CD96
	buffer_load_dword v14, s[16:19], 0 offen lds               // 000000003A64: E0511000 8004000E
	s_add_u32 m0, 0x500, s37                                   // 000000003A6C: 807C25FF 00000500
	v_mfma_f32_16x16x16_bf16 v[136:139], a[152:153], v[104:105], v[136:139]// 000000003A74: D3E10088 0E22D198
	v_mfma_f32_16x16x16_bf16 v[136:139], a[154:155], v[106:107], v[136:139]// 000000003A7C: D3E10088 0E22D59A
	buffer_load_dwordx4 a[20:23], v27, s[20:23], 0 offen offset:1024// 000000003A84: E05C1400 8085141B
	v_mfma_f32_16x16x16_bf16 v[136:139], a[156:157], v[108:109], v[136:139]// 000000003A8C: D3E10088 0E22D99C
	v_mfma_f32_16x16x16_bf16 v[136:139], a[158:159], v[110:111], v[136:139]// 000000003A94: D3E10088 0E22DD9E
	buffer_load_dword v15, s[16:19], 0 offen lds               // 000000003A9C: E0511000 8004000F
	s_add_u32 m0, 0x600, s37                                   // 000000003AA4: 807C25FF 00000600
	v_mfma_f32_16x16x16_bf16 v[140:143], a[144:145], v[112:113], v[140:143]// 000000003AAC: D3E1008C 0E32E190
	v_mfma_f32_16x16x16_bf16 v[140:143], a[146:147], v[114:115], v[140:143]// 000000003AB4: D3E1008C 0E32E592
	buffer_load_dwordx4 a[24:27], v27, s[20:23], 0 offen offset:2048// 000000003ABC: E05C1800 8085181B
	v_mfma_f32_16x16x16_bf16 v[140:143], a[148:149], v[116:117], v[140:143]// 000000003AC4: D3E1008C 0E32E994
	v_mfma_f32_16x16x16_bf16 v[140:143], a[150:151], v[118:119], v[140:143]// 000000003ACC: D3E1008C 0E32ED96
	buffer_load_dword v16, s[16:19], 0 offen lds               // 000000003AD4: E0511000 80040010
	s_add_u32 m0, 0x700, s37                                   // 000000003ADC: 807C25FF 00000700
	v_mfma_f32_16x16x16_bf16 v[140:143], a[152:153], v[120:121], v[140:143]// 000000003AE4: D3E1008C 0E32F198
	v_mfma_f32_16x16x16_bf16 v[140:143], a[154:155], v[122:123], v[140:143]// 000000003AEC: D3E1008C 0E32F59A
	buffer_load_dwordx4 a[28:31], v27, s[20:23], 0 offen offset:3072// 000000003AF4: E05C1C00 80851C1B
	v_mfma_f32_16x16x16_bf16 v[140:143], a[156:157], v[124:125], v[140:143]// 000000003AFC: D3E1008C 0E32F99C
	v_mfma_f32_16x16x16_bf16 v[140:143], a[158:159], v[126:127], v[140:143]// 000000003B04: D3E1008C 0E32FD9E
	buffer_load_dword v17, s[16:19], 0 offen lds               // 000000003B0C: E0511000 80040011
	s_add_u32 m0, 0, s36                                       // 000000003B14: 807C2480
	s_waitcnt vmcnt(32)                                        // 000000003B18: BF8C8F70
	v_mfma_f32_16x16x16_bf16 v[144:147], a[160:161], v[96:97], v[144:147]// 000000003B1C: D3E10090 0E42C1A0
	v_mfma_f32_16x16x16_bf16 v[144:147], a[162:163], v[98:99], v[144:147]// 000000003B24: D3E10090 0E42C5A2
	buffer_load_dwordx4 a[32:35], v28, s[20:23], 0 offen       // 000000003B2C: E05C1000 8085201C
	v_mfma_f32_16x16x16_bf16 v[144:147], a[164:165], v[100:101], v[144:147]// 000000003B34: D3E10090 0E42C9A4
	v_mfma_f32_16x16x16_bf16 v[144:147], a[166:167], v[102:103], v[144:147]// 000000003B3C: D3E10090 0E42CDA6
	ds_read_b128 v[64:67], v2                                  // 000000003B44: D9FE0000 40000002
	v_mfma_f32_16x16x16_bf16 v[144:147], a[168:169], v[104:105], v[144:147]// 000000003B4C: D3E10090 0E42D1A8
	v_mfma_f32_16x16x16_bf16 v[144:147], a[170:171], v[106:107], v[144:147]// 000000003B54: D3E10090 0E42D5AA
	buffer_load_dwordx4 a[36:39], v28, s[20:23], 0 offen offset:1024// 000000003B5C: E05C1400 8085241C
	v_mfma_f32_16x16x16_bf16 v[144:147], a[172:173], v[108:109], v[144:147]// 000000003B64: D3E10090 0E42D9AC
	v_mfma_f32_16x16x16_bf16 v[144:147], a[174:175], v[110:111], v[144:147]// 000000003B6C: D3E10090 0E42DDAE
	ds_read_b128 v[68:71], v2 offset:64                        // 000000003B74: D9FE0040 44000002
	v_mfma_f32_16x16x16_bf16 v[148:151], a[160:161], v[112:113], v[148:151]// 000000003B7C: D3E10094 0E52E1A0
	v_mfma_f32_16x16x16_bf16 v[148:151], a[162:163], v[114:115], v[148:151]// 000000003B84: D3E10094 0E52E5A2
	buffer_load_dwordx4 a[40:43], v28, s[20:23], 0 offen offset:2048// 000000003B8C: E05C1800 8085281C
	v_mfma_f32_16x16x16_bf16 v[148:151], a[164:165], v[116:117], v[148:151]// 000000003B94: D3E10094 0E52E9A4
	v_mfma_f32_16x16x16_bf16 v[148:151], a[166:167], v[118:119], v[148:151]// 000000003B9C: D3E10094 0E52EDA6
	ds_read_b128 v[72:75], v2 offset:128                       // 000000003BA4: D9FE0080 48000002
	v_mfma_f32_16x16x16_bf16 v[148:151], a[168:169], v[120:121], v[148:151]// 000000003BAC: D3E10094 0E52F1A8
	v_mfma_f32_16x16x16_bf16 v[148:151], a[170:171], v[122:123], v[148:151]// 000000003BB4: D3E10094 0E52F5AA
	buffer_load_dwordx4 a[44:47], v28, s[20:23], 0 offen offset:3072// 000000003BBC: E05C1C00 80852C1C
	v_mfma_f32_16x16x16_bf16 v[148:151], a[172:173], v[124:125], v[148:151]// 000000003BC4: D3E10094 0E52F9AC
	v_mfma_f32_16x16x16_bf16 v[148:151], a[174:175], v[126:127], v[148:151]// 000000003BCC: D3E10094 0E52FDAE
	ds_read_b128 v[76:79], v2 offset:192                       // 000000003BD4: D9FE00C0 4C000002
	v_mfma_f32_16x16x16_bf16 v[152:155], a[176:177], v[96:97], v[152:155]// 000000003BDC: D3E10098 0E62C1B0
	v_mfma_f32_16x16x16_bf16 v[152:155], a[178:179], v[98:99], v[152:155]// 000000003BE4: D3E10098 0E62C5B2
	buffer_load_dwordx4 a[48:51], v29, s[20:23], 0 offen       // 000000003BEC: E05C1000 8085301D
	v_mfma_f32_16x16x16_bf16 v[152:155], a[180:181], v[100:101], v[152:155]// 000000003BF4: D3E10098 0E62C9B4
	v_mfma_f32_16x16x16_bf16 v[152:155], a[182:183], v[102:103], v[152:155]// 000000003BFC: D3E10098 0E62CDB6
	ds_read_b128 v[80:83], v2 offset:1024                      // 000000003C04: D9FE0400 50000002
	v_mfma_f32_16x16x16_bf16 v[152:155], a[184:185], v[104:105], v[152:155]// 000000003C0C: D3E10098 0E62D1B8
	v_mfma_f32_16x16x16_bf16 v[152:155], a[186:187], v[106:107], v[152:155]// 000000003C14: D3E10098 0E62D5BA
	buffer_load_dwordx4 a[52:55], v29, s[20:23], 0 offen offset:1024// 000000003C1C: E05C1400 8085341D
	v_mfma_f32_16x16x16_bf16 v[152:155], a[188:189], v[108:109], v[152:155]// 000000003C24: D3E10098 0E62D9BC
	v_mfma_f32_16x16x16_bf16 v[152:155], a[190:191], v[110:111], v[152:155]// 000000003C2C: D3E10098 0E62DDBE
	ds_read_b128 v[84:87], v2 offset:1088                      // 000000003C34: D9FE0440 54000002
	v_mfma_f32_16x16x16_bf16 v[156:159], a[176:177], v[112:113], v[156:159]// 000000003C3C: D3E1009C 0E72E1B0
	v_mfma_f32_16x16x16_bf16 v[156:159], a[178:179], v[114:115], v[156:159]// 000000003C44: D3E1009C 0E72E5B2
	buffer_load_dwordx4 a[56:59], v29, s[20:23], 0 offen offset:2048// 000000003C4C: E05C1800 8085381D
	v_mfma_f32_16x16x16_bf16 v[156:159], a[180:181], v[116:117], v[156:159]// 000000003C54: D3E1009C 0E72E9B4
	v_mfma_f32_16x16x16_bf16 v[156:159], a[182:183], v[118:119], v[156:159]// 000000003C5C: D3E1009C 0E72EDB6
	ds_read_b128 v[88:91], v2 offset:1152                      // 000000003C64: D9FE0480 58000002
	v_mfma_f32_16x16x16_bf16 v[156:159], a[184:185], v[120:121], v[156:159]// 000000003C6C: D3E1009C 0E72F1B8
	v_mfma_f32_16x16x16_bf16 v[156:159], a[186:187], v[122:123], v[156:159]// 000000003C74: D3E1009C 0E72F5BA
	buffer_load_dwordx4 a[60:63], v29, s[20:23], 0 offen offset:3072// 000000003C7C: E05C1C00 80853C1D
	v_mfma_f32_16x16x16_bf16 v[156:159], a[188:189], v[124:125], v[156:159]// 000000003C84: D3E1009C 0E72F9BC
	v_mfma_f32_16x16x16_bf16 v[156:159], a[190:191], v[126:127], v[156:159]// 000000003C8C: D3E1009C 0E72FDBE
	ds_read_b128 v[92:95], v2 offset:1216                      // 000000003C94: D9FE04C0 5C000002
	s_waitcnt vmcnt(32)                                        // 000000003C9C: BF8C8F70
	v_mfma_f32_16x16x16_bf16 v[160:163], a[192:193], v[96:97], v[160:163]// 000000003CA0: D3E100A0 0E82C1C0
	v_mfma_f32_16x16x16_bf16 v[160:163], a[194:195], v[98:99], v[160:163]// 000000003CA8: D3E100A0 0E82C5C2
	buffer_load_dwordx4 a[64:67], v30, s[20:23], 0 offen       // 000000003CB0: E05C1000 8085401E
	v_mfma_f32_16x16x16_bf16 v[160:163], a[196:197], v[100:101], v[160:163]// 000000003CB8: D3E100A0 0E82C9C4
	s_add_u32 s60, 0x180, s80                                  // 000000003CC0: 803C50FF 00000180
	s_cmp_lt_u32 s60, s81                                      // 000000003CC8: BF0A513C
	s_cselect_b32 s57, s57, 0                                  // 000000003CCC: 85398039
	v_mfma_f32_16x16x16_bf16 v[160:163], a[198:199], v[102:103], v[160:163]// 000000003CD0: D3E100A0 0E82CDC6
	v_mfma_f32_16x16x16_bf16 v[160:163], a[200:201], v[104:105], v[160:163]// 000000003CD8: D3E100A0 0E82D1C8
	v_mfma_f32_16x16x16_bf16 v[160:163], a[202:203], v[106:107], v[160:163]// 000000003CE0: D3E100A0 0E82D5CA
	buffer_load_dwordx4 a[68:71], v30, s[20:23], 0 offen offset:1024// 000000003CE8: E05C1400 8085441E
	v_mfma_f32_16x16x16_bf16 v[160:163], a[204:205], v[108:109], v[160:163]// 000000003CF0: D3E100A0 0E82D9CC
	s_add_u32 s60, 0x100, s80                                  // 000000003CF8: 803C50FF 00000100
	s_cmp_lt_u32 s60, s81                                      // 000000003D00: BF0A513C
	s_cselect_b32 s58, s58, 0                                  // 000000003D04: 853A803A
	v_mfma_f32_16x16x16_bf16 v[160:163], a[206:207], v[110:111], v[160:163]// 000000003D08: D3E100A0 0E82DDCE
	v_mfma_f32_16x16x16_bf16 v[164:167], a[192:193], v[112:113], v[164:167]// 000000003D10: D3E100A4 0E92E1C0
	v_mfma_f32_16x16x16_bf16 v[164:167], a[194:195], v[114:115], v[164:167]// 000000003D18: D3E100A4 0E92E5C2
	buffer_load_dwordx4 a[72:75], v30, s[20:23], 0 offen offset:2048// 000000003D20: E05C1800 8085481E
	v_mfma_f32_16x16x16_bf16 v[164:167], a[196:197], v[116:117], v[164:167]// 000000003D28: D3E100A4 0E92E9C4
	s_add_u32 s16, s57, s16                                    // 000000003D30: 80101039
	s_addc_u32 s17, 0, s17                                     // 000000003D34: 82111180
	v_mfma_f32_16x16x16_bf16 v[164:167], a[198:199], v[118:119], v[164:167]// 000000003D38: D3E100A4 0E92EDC6
	v_mfma_f32_16x16x16_bf16 v[164:167], a[200:201], v[120:121], v[164:167]// 000000003D40: D3E100A4 0E92F1C8
	v_mfma_f32_16x16x16_bf16 v[164:167], a[202:203], v[122:123], v[164:167]// 000000003D48: D3E100A4 0E92F5CA
	buffer_load_dwordx4 a[76:79], v30, s[20:23], 0 offen offset:3072// 000000003D50: E05C1C00 80854C1E
	v_mfma_f32_16x16x16_bf16 v[164:167], a[204:205], v[124:125], v[164:167]// 000000003D58: D3E100A4 0E92F9CC
	v_mfma_f32_16x16x16_bf16 v[164:167], a[206:207], v[126:127], v[164:167]// 000000003D60: D3E100A4 0E92FDCE
	v_mfma_f32_16x16x16_bf16 v[168:171], a[208:209], v[96:97], v[168:171]// 000000003D68: D3E100A8 0EA2C1D0
	v_mfma_f32_16x16x16_bf16 v[168:171], a[210:211], v[98:99], v[168:171]// 000000003D70: D3E100A8 0EA2C5D2
	buffer_load_dwordx4 a[80:83], v31, s[20:23], 0 offen       // 000000003D78: E05C1000 8085501F
	v_mfma_f32_16x16x16_bf16 v[168:171], a[212:213], v[100:101], v[168:171]// 000000003D80: D3E100A8 0EA2C9D4
	v_mfma_f32_16x16x16_bf16 v[168:171], a[214:215], v[102:103], v[168:171]// 000000003D88: D3E100A8 0EA2CDD6
	v_mfma_f32_16x16x16_bf16 v[168:171], a[216:217], v[104:105], v[168:171]// 000000003D90: D3E100A8 0EA2D1D8
	v_mfma_f32_16x16x16_bf16 v[168:171], a[218:219], v[106:107], v[168:171]// 000000003D98: D3E100A8 0EA2D5DA
	buffer_load_dwordx4 a[84:87], v31, s[20:23], 0 offen offset:1024// 000000003DA0: E05C1400 8085541F
	v_mfma_f32_16x16x16_bf16 v[168:171], a[220:221], v[108:109], v[168:171]// 000000003DA8: D3E100A8 0EA2D9DC
	v_mfma_f32_16x16x16_bf16 v[168:171], a[222:223], v[110:111], v[168:171]// 000000003DB0: D3E100A8 0EA2DDDE
	v_mfma_f32_16x16x16_bf16 v[172:175], a[208:209], v[112:113], v[172:175]// 000000003DB8: D3E100AC 0EB2E1D0
	v_mfma_f32_16x16x16_bf16 v[172:175], a[210:211], v[114:115], v[172:175]// 000000003DC0: D3E100AC 0EB2E5D2
	buffer_load_dwordx4 a[88:91], v31, s[20:23], 0 offen offset:2048// 000000003DC8: E05C1800 8085581F
	v_mfma_f32_16x16x16_bf16 v[172:175], a[212:213], v[116:117], v[172:175]// 000000003DD0: D3E100AC 0EB2E9D4
	v_mfma_f32_16x16x16_bf16 v[172:175], a[214:215], v[118:119], v[172:175]// 000000003DD8: D3E100AC 0EB2EDD6
	v_mfma_f32_16x16x16_bf16 v[172:175], a[216:217], v[120:121], v[172:175]// 000000003DE0: D3E100AC 0EB2F1D8
	v_mfma_f32_16x16x16_bf16 v[172:175], a[218:219], v[122:123], v[172:175]// 000000003DE8: D3E100AC 0EB2F5DA
	buffer_load_dwordx4 a[92:95], v31, s[20:23], 0 offen offset:3072// 000000003DF0: E05C1C00 80855C1F
	v_mfma_f32_16x16x16_bf16 v[172:175], a[220:221], v[124:125], v[172:175]// 000000003DF8: D3E100AC 0EB2F9DC
	v_mfma_f32_16x16x16_bf16 v[172:175], a[222:223], v[126:127], v[172:175]// 000000003E00: D3E100AC 0EB2FDDE
	s_waitcnt vmcnt(32)                                        // 000000003E08: BF8C8F70
	v_mfma_f32_16x16x16_bf16 v[176:179], a[224:225], v[96:97], v[176:179]// 000000003E0C: D3E100B0 0EC2C1E0
	v_mfma_f32_16x16x16_bf16 v[176:179], a[226:227], v[98:99], v[176:179]// 000000003E14: D3E100B0 0EC2C5E2
	buffer_load_dwordx4 a[96:99], v32, s[20:23], 0 offen       // 000000003E1C: E05C1000 80856020
	v_mfma_f32_16x16x16_bf16 v[176:179], a[228:229], v[100:101], v[176:179]// 000000003E24: D3E100B0 0EC2C9E4
	v_mfma_f32_16x16x16_bf16 v[176:179], a[230:231], v[102:103], v[176:179]// 000000003E2C: D3E100B0 0EC2CDE6
	v_mfma_f32_16x16x16_bf16 v[176:179], a[232:233], v[104:105], v[176:179]// 000000003E34: D3E100B0 0EC2D1E8
	v_mfma_f32_16x16x16_bf16 v[176:179], a[234:235], v[106:107], v[176:179]// 000000003E3C: D3E100B0 0EC2D5EA
	buffer_load_dwordx4 a[100:103], v32, s[20:23], 0 offen offset:1024// 000000003E44: E05C1400 80856420
	v_mfma_f32_16x16x16_bf16 v[176:179], a[236:237], v[108:109], v[176:179]// 000000003E4C: D3E100B0 0EC2D9EC
	v_mfma_f32_16x16x16_bf16 v[176:179], a[238:239], v[110:111], v[176:179]// 000000003E54: D3E100B0 0EC2DDEE
	v_mfma_f32_16x16x16_bf16 v[180:183], a[224:225], v[112:113], v[180:183]// 000000003E5C: D3E100B4 0ED2E1E0
	v_mfma_f32_16x16x16_bf16 v[180:183], a[226:227], v[114:115], v[180:183]// 000000003E64: D3E100B4 0ED2E5E2
	buffer_load_dwordx4 a[104:107], v32, s[20:23], 0 offen offset:2048// 000000003E6C: E05C1800 80856820
	v_mfma_f32_16x16x16_bf16 v[180:183], a[228:229], v[116:117], v[180:183]// 000000003E74: D3E100B4 0ED2E9E4
	v_mfma_f32_16x16x16_bf16 v[180:183], a[230:231], v[118:119], v[180:183]// 000000003E7C: D3E100B4 0ED2EDE6
	v_mfma_f32_16x16x16_bf16 v[180:183], a[232:233], v[120:121], v[180:183]// 000000003E84: D3E100B4 0ED2F1E8
	v_mfma_f32_16x16x16_bf16 v[180:183], a[234:235], v[122:123], v[180:183]// 000000003E8C: D3E100B4 0ED2F5EA
	buffer_load_dwordx4 a[108:111], v32, s[20:23], 0 offen offset:3072// 000000003E94: E05C1C00 80856C20
	v_mfma_f32_16x16x16_bf16 v[180:183], a[236:237], v[124:125], v[180:183]// 000000003E9C: D3E100B4 0ED2F9EC
	v_mfma_f32_16x16x16_bf16 v[180:183], a[238:239], v[126:127], v[180:183]// 000000003EA4: D3E100B4 0ED2FDEE
	v_mfma_f32_16x16x16_bf16 v[184:187], a[240:241], v[96:97], v[184:187]// 000000003EAC: D3E100B8 0EE2C1F0
	v_mfma_f32_16x16x16_bf16 v[184:187], a[242:243], v[98:99], v[184:187]// 000000003EB4: D3E100B8 0EE2C5F2
	buffer_load_dwordx4 a[112:115], v33, s[20:23], 0 offen     // 000000003EBC: E05C1000 80857021
	v_mfma_f32_16x16x16_bf16 v[184:187], a[244:245], v[100:101], v[184:187]// 000000003EC4: D3E100B8 0EE2C9F4
	v_mfma_f32_16x16x16_bf16 v[184:187], a[246:247], v[102:103], v[184:187]// 000000003ECC: D3E100B8 0EE2CDF6
	v_mfma_f32_16x16x16_bf16 v[184:187], a[248:249], v[104:105], v[184:187]// 000000003ED4: D3E100B8 0EE2D1F8
	v_mfma_f32_16x16x16_bf16 v[184:187], a[250:251], v[106:107], v[184:187]// 000000003EDC: D3E100B8 0EE2D5FA
	buffer_load_dwordx4 a[116:119], v33, s[20:23], 0 offen offset:1024// 000000003EE4: E05C1400 80857421
	v_mfma_f32_16x16x16_bf16 v[184:187], a[252:253], v[108:109], v[184:187]// 000000003EEC: D3E100B8 0EE2D9FC
	v_mfma_f32_16x16x16_bf16 v[184:187], a[254:255], v[110:111], v[184:187]// 000000003EF4: D3E100B8 0EE2DDFE
	v_mfma_f32_16x16x16_bf16 v[188:191], a[240:241], v[112:113], v[188:191]// 000000003EFC: D3E100BC 0EF2E1F0
	v_mfma_f32_16x16x16_bf16 v[188:191], a[242:243], v[114:115], v[188:191]// 000000003F04: D3E100BC 0EF2E5F2
	buffer_load_dwordx4 a[120:123], v33, s[20:23], 0 offen offset:2048// 000000003F0C: E05C1800 80857821
	v_mfma_f32_16x16x16_bf16 v[188:191], a[244:245], v[116:117], v[188:191]// 000000003F14: D3E100BC 0EF2E9F4
	v_mfma_f32_16x16x16_bf16 v[188:191], a[246:247], v[118:119], v[188:191]// 000000003F1C: D3E100BC 0EF2EDF6
	v_mfma_f32_16x16x16_bf16 v[188:191], a[248:249], v[120:121], v[188:191]// 000000003F24: D3E100BC 0EF2F1F8
	v_mfma_f32_16x16x16_bf16 v[188:191], a[250:251], v[122:123], v[188:191]// 000000003F2C: D3E100BC 0EF2F5FA
	buffer_load_dwordx4 a[124:127], v33, s[20:23], 0 offen offset:3072// 000000003F34: E05C1C00 80857C21
	v_mfma_f32_16x16x16_bf16 v[188:191], a[252:253], v[124:125], v[188:191]// 000000003F3C: D3E100BC 0EF2F9FC
	s_add_u32 s20, s58, s20                                    // 000000003F44: 8014143A
	s_addc_u32 s21, 0, s21                                     // 000000003F48: 82151580
	v_mfma_f32_16x16x16_bf16 v[188:191], a[254:255], v[126:127], v[188:191]// 000000003F4C: D3E100BC 0EF2FDFE
	s_addk_i32 s80, 0x80                                       // 000000003F54: B7500080
	s_cmp_lt_i32 s80, s81                                      // 000000003F58: BF045150
	s_cbranch_scc0 label_0519                                  // 000000003F5C: BF840001
	s_branch label_0212                                        // 000000003F60: BF82FCF9

0000000000003f64 <label_0519>:
	s_mov_b32 s38, -1                                          // 000000003F64: BEA600C1
	s_mov_b32 s39, -1                                          // 000000003F68: BEA700C1
	s_mov_b64 s[60:61], 0                                      // 000000003F6C: BEBC0180
	s_cmp_lt_u32 s82, s66                                      // 000000003F70: BF0A4252
	s_cselect_b64 s[16:17], s[38:39], s[60:61]                 // 000000003F74: 85903C26
	s_cmp_lt_u32 s83, s66                                      // 000000003F78: BF0A4253
	s_cselect_b64 s[18:19], s[38:39], s[60:61]                 // 000000003F7C: 85923C26
	s_cmp_lt_u32 s84, s66                                      // 000000003F80: BF0A4254
	s_cselect_b64 s[20:21], s[38:39], s[60:61]                 // 000000003F84: 85943C26
	s_cmp_lt_u32 s85, s66                                      // 000000003F88: BF0A4255
	s_cselect_b64 s[22:23], s[38:39], s[60:61]                 // 000000003F8C: 85963C26
	s_cmp_lt_u32 s86, s66                                      // 000000003F90: BF0A4256
	s_cselect_b64 s[24:25], s[38:39], s[60:61]                 // 000000003F94: 85983C26
	s_cmp_lt_u32 s87, s66                                      // 000000003F98: BF0A4257
	s_cselect_b64 s[26:27], s[38:39], s[60:61]                 // 000000003F9C: 859A3C26
	s_cmp_lt_u32 s88, s66                                      // 000000003FA0: BF0A4258
	s_cselect_b64 s[28:29], s[38:39], s[60:61]                 // 000000003FA4: 859C3C26
	s_cmp_lt_u32 s89, s66                                      // 000000003FA8: BF0A4259
	s_cselect_b64 s[30:31], s[38:39], s[60:61]                 // 000000003FAC: 859E3C26
	s_waitcnt vmcnt(24)                                        // 000000003FB0: BF8C4F78
	buffer_load_dwordx4 a[0:3], v18, s[12:15], 0 offen         // 000000003FB4: E05C1000 80830012
	v_mul_f32_e32 v54, v128, v128                              // 000000003FBC: 0A6D0180
	v_mul_f32_e32 v55, v129, v129                              // 000000003FC0: 0A6F0381
	v_mul_f32_e32 v56, v130, v130                              // 000000003FC4: 0A710582
	v_mul_f32_e32 v57, v131, v131                              // 000000003FC8: 0A730783
	v_fma_f32 v54, v54, s77, v5                                // 000000003FCC: D1CB0036 04149B36
	v_fma_f32 v55, v55, s77, v5                                // 000000003FD4: D1CB0037 04149B37
	v_fma_f32 v56, v56, s77, v5                                // 000000003FDC: D1CB0038 04149B38
	v_fma_f32 v57, v57, s77, v5                                // 000000003FE4: D1CB0039 04149B39
	v_mul_f32_e32 v54, v54, v128                               // 000000003FEC: 0A6D0136
	v_mul_f32_e32 v55, v55, v129                               // 000000003FF0: 0A6F0337
	v_mul_f32_e32 v56, v56, v130                               // 000000003FF4: 0A710538
	v_mul_f32_e32 v57, v57, v131                               // 000000003FF8: 0A730739
	v_mul_f32_e64 v54, v54, s6                                 // 000000003FFC: D1050036 00000D36
	v_mul_f32_e64 v55, v55, s6                                 // 000000004004: D1050037 00000D37
	v_mul_f32_e64 v56, v56, s6                                 // 00000000400C: D1050038 00000D38
	v_mul_f32_e64 v57, v57, s6                                 // 000000004014: D1050039 00000D39
	v_exp_f32_e32 v54, v54                                     // 00000000401C: 7E6C4136
	v_exp_f32_e32 v55, v55                                     // 000000004020: 7E6E4137
	v_exp_f32_e32 v56, v56                                     // 000000004024: 7E704138
	buffer_load_dwordx4 a[4:7], v18, s[12:15], 0 offen offset:1024// 000000004028: E05C1400 80830412
	v_exp_f32_e32 v57, v57                                     // 000000004030: 7E724139
	v_add_f32_e64 v54, v54, 1.0                                // 000000004034: D1010036 0001E536
	v_add_f32_e64 v55, v55, 1.0                                // 00000000403C: D1010037 0001E537
	v_add_f32_e64 v56, v56, 1.0                                // 000000004044: D1010038 0001E538
	v_add_f32_e64 v57, v57, 1.0                                // 00000000404C: D1010039 0001E539
	v_rcp_f32_e32 v54, v54                                     // 000000004054: 7E6C4536
	v_rcp_f32_e32 v55, v55                                     // 000000004058: 7E6E4537
	v_rcp_f32_e32 v56, v56                                     // 00000000405C: 7E704538
	v_rcp_f32_e32 v57, v57                                     // 000000004060: 7E724539
	v_mul_f32_e32 v128, v128, v54                              // 000000004064: 0B006D80
	v_mul_f32_e32 v129, v129, v55                              // 000000004068: 0B026F81
	v_mul_f32_e32 v130, v130, v56                              // 00000000406C: 0B047182
	v_mul_f32_e32 v131, v131, v57                              // 000000004070: 0B067383
	buffer_load_dwordx4 a[8:11], v18, s[12:15], 0 offen offset:2048// 000000004074: E05C1800 80830812
	v_mul_f32_e32 v54, v132, v132                              // 00000000407C: 0A6D0984
	v_mul_f32_e32 v55, v133, v133                              // 000000004080: 0A6F0B85
	v_mul_f32_e32 v56, v134, v134                              // 000000004084: 0A710D86
	v_mul_f32_e32 v57, v135, v135                              // 000000004088: 0A730F87
	v_fma_f32 v54, v54, s77, v5                                // 00000000408C: D1CB0036 04149B36
	v_fma_f32 v55, v55, s77, v5                                // 000000004094: D1CB0037 04149B37
	v_fma_f32 v56, v56, s77, v5                                // 00000000409C: D1CB0038 04149B38
	v_fma_f32 v57, v57, s77, v5                                // 0000000040A4: D1CB0039 04149B39
	v_mul_f32_e32 v54, v54, v132                               // 0000000040AC: 0A6D0936
	v_mul_f32_e32 v55, v55, v133                               // 0000000040B0: 0A6F0B37
	v_mul_f32_e32 v56, v56, v134                               // 0000000040B4: 0A710D38
	v_mul_f32_e32 v57, v57, v135                               // 0000000040B8: 0A730F39
	v_mul_f32_e64 v54, v54, s6                                 // 0000000040BC: D1050036 00000D36
	v_mul_f32_e64 v55, v55, s6                                 // 0000000040C4: D1050037 00000D37
	v_mul_f32_e64 v56, v56, s6                                 // 0000000040CC: D1050038 00000D38
	v_mul_f32_e64 v57, v57, s6                                 // 0000000040D4: D1050039 00000D39
	v_exp_f32_e32 v54, v54                                     // 0000000040DC: 7E6C4136
	v_exp_f32_e32 v55, v55                                     // 0000000040E0: 7E6E4137
	v_exp_f32_e32 v56, v56                                     // 0000000040E4: 7E704138
	buffer_load_dwordx4 a[12:15], v18, s[12:15], 0 offen offset:3072// 0000000040E8: E05C1C00 80830C12
	v_exp_f32_e32 v57, v57                                     // 0000000040F0: 7E724139
	v_add_f32_e64 v54, v54, 1.0                                // 0000000040F4: D1010036 0001E536
	v_add_f32_e64 v55, v55, 1.0                                // 0000000040FC: D1010037 0001E537
	v_add_f32_e64 v56, v56, 1.0                                // 000000004104: D1010038 0001E538
	v_add_f32_e64 v57, v57, 1.0                                // 00000000410C: D1010039 0001E539
	v_rcp_f32_e32 v54, v54                                     // 000000004114: 7E6C4536
	v_rcp_f32_e32 v55, v55                                     // 000000004118: 7E6E4537
	v_rcp_f32_e32 v56, v56                                     // 00000000411C: 7E704538
	v_rcp_f32_e32 v57, v57                                     // 000000004120: 7E724539
	v_mul_f32_e32 v132, v132, v54                              // 000000004124: 0B086D84
	v_mul_f32_e32 v133, v133, v55                              // 000000004128: 0B0A6F85
	v_mul_f32_e32 v134, v134, v56                              // 00000000412C: 0B0C7186
	v_mul_f32_e32 v135, v135, v57                              // 000000004130: 0B0E7387
	buffer_load_dwordx4 a[16:19], v19, s[12:15], 0 offen       // 000000004134: E05C1000 80831013
	v_mul_f32_e32 v54, v136, v136                              // 00000000413C: 0A6D1188
	v_mul_f32_e32 v55, v137, v137                              // 000000004140: 0A6F1389
	v_mul_f32_e32 v56, v138, v138                              // 000000004144: 0A71158A
	v_mul_f32_e32 v57, v139, v139                              // 000000004148: 0A73178B
	v_fma_f32 v54, v54, s77, v5                                // 00000000414C: D1CB0036 04149B36
	v_fma_f32 v55, v55, s77, v5                                // 000000004154: D1CB0037 04149B37
	v_fma_f32 v56, v56, s77, v5                                // 00000000415C: D1CB0038 04149B38
	v_fma_f32 v57, v57, s77, v5                                // 000000004164: D1CB0039 04149B39
	v_mul_f32_e32 v54, v54, v136                               // 00000000416C: 0A6D1136
	v_mul_f32_e32 v55, v55, v137                               // 000000004170: 0A6F1337
	v_mul_f32_e32 v56, v56, v138                               // 000000004174: 0A711538
	v_mul_f32_e32 v57, v57, v139                               // 000000004178: 0A731739
	v_mul_f32_e64 v54, v54, s6                                 // 00000000417C: D1050036 00000D36
	v_mul_f32_e64 v55, v55, s6                                 // 000000004184: D1050037 00000D37
	v_mul_f32_e64 v56, v56, s6                                 // 00000000418C: D1050038 00000D38
	v_mul_f32_e64 v57, v57, s6                                 // 000000004194: D1050039 00000D39
	v_exp_f32_e32 v54, v54                                     // 00000000419C: 7E6C4136
	v_exp_f32_e32 v55, v55                                     // 0000000041A0: 7E6E4137
	v_exp_f32_e32 v56, v56                                     // 0000000041A4: 7E704138
	buffer_load_dwordx4 a[20:23], v19, s[12:15], 0 offen offset:1024// 0000000041A8: E05C1400 80831413
	v_exp_f32_e32 v57, v57                                     // 0000000041B0: 7E724139
	v_add_f32_e64 v54, v54, 1.0                                // 0000000041B4: D1010036 0001E536
	v_add_f32_e64 v55, v55, 1.0                                // 0000000041BC: D1010037 0001E537
	v_add_f32_e64 v56, v56, 1.0                                // 0000000041C4: D1010038 0001E538
	v_add_f32_e64 v57, v57, 1.0                                // 0000000041CC: D1010039 0001E539
	v_rcp_f32_e32 v54, v54                                     // 0000000041D4: 7E6C4536
	v_rcp_f32_e32 v55, v55                                     // 0000000041D8: 7E6E4537
	v_rcp_f32_e32 v56, v56                                     // 0000000041DC: 7E704538
	v_rcp_f32_e32 v57, v57                                     // 0000000041E0: 7E724539
	v_mul_f32_e32 v136, v136, v54                              // 0000000041E4: 0B106D88
	v_mul_f32_e32 v137, v137, v55                              // 0000000041E8: 0B126F89
	v_mul_f32_e32 v138, v138, v56                              // 0000000041EC: 0B14718A
	v_mul_f32_e32 v139, v139, v57                              // 0000000041F0: 0B16738B
	buffer_load_dwordx4 a[24:27], v19, s[12:15], 0 offen offset:2048// 0000000041F4: E05C1800 80831813
	v_mul_f32_e32 v54, v140, v140                              // 0000000041FC: 0A6D198C
	v_mul_f32_e32 v55, v141, v141                              // 000000004200: 0A6F1B8D
	v_mul_f32_e32 v56, v142, v142                              // 000000004204: 0A711D8E
	v_mul_f32_e32 v57, v143, v143                              // 000000004208: 0A731F8F
	v_fma_f32 v54, v54, s77, v5                                // 00000000420C: D1CB0036 04149B36
	v_fma_f32 v55, v55, s77, v5                                // 000000004214: D1CB0037 04149B37
	v_fma_f32 v56, v56, s77, v5                                // 00000000421C: D1CB0038 04149B38
	v_fma_f32 v57, v57, s77, v5                                // 000000004224: D1CB0039 04149B39
	v_mul_f32_e32 v54, v54, v140                               // 00000000422C: 0A6D1936
	v_mul_f32_e32 v55, v55, v141                               // 000000004230: 0A6F1B37
	v_mul_f32_e32 v56, v56, v142                               // 000000004234: 0A711D38
	v_mul_f32_e32 v57, v57, v143                               // 000000004238: 0A731F39
	v_mul_f32_e64 v54, v54, s6                                 // 00000000423C: D1050036 00000D36
	v_mul_f32_e64 v55, v55, s6                                 // 000000004244: D1050037 00000D37
	v_mul_f32_e64 v56, v56, s6                                 // 00000000424C: D1050038 00000D38
	v_mul_f32_e64 v57, v57, s6                                 // 000000004254: D1050039 00000D39
	v_exp_f32_e32 v54, v54                                     // 00000000425C: 7E6C4136
	v_exp_f32_e32 v55, v55                                     // 000000004260: 7E6E4137
	v_exp_f32_e32 v56, v56                                     // 000000004264: 7E704138
	buffer_load_dwordx4 a[28:31], v19, s[12:15], 0 offen offset:3072// 000000004268: E05C1C00 80831C13
	v_exp_f32_e32 v57, v57                                     // 000000004270: 7E724139
	v_add_f32_e64 v54, v54, 1.0                                // 000000004274: D1010036 0001E536
	v_add_f32_e64 v55, v55, 1.0                                // 00000000427C: D1010037 0001E537
	v_add_f32_e64 v56, v56, 1.0                                // 000000004284: D1010038 0001E538
	v_add_f32_e64 v57, v57, 1.0                                // 00000000428C: D1010039 0001E539
	v_rcp_f32_e32 v54, v54                                     // 000000004294: 7E6C4536
	v_rcp_f32_e32 v55, v55                                     // 000000004298: 7E6E4537
	v_rcp_f32_e32 v56, v56                                     // 00000000429C: 7E704538
	v_rcp_f32_e32 v57, v57                                     // 0000000042A0: 7E724539
	v_mul_f32_e32 v140, v140, v54                              // 0000000042A4: 0B186D8C
	v_mul_f32_e32 v141, v141, v55                              // 0000000042A8: 0B1A6F8D
	v_mul_f32_e32 v142, v142, v56                              // 0000000042AC: 0B1C718E
	v_mul_f32_e32 v143, v143, v57                              // 0000000042B0: 0B1E738F
	s_waitcnt vmcnt(24)                                        // 0000000042B4: BF8C4F78
	buffer_load_dwordx4 a[32:35], v20, s[12:15], 0 offen       // 0000000042B8: E05C1000 80832014
	v_mul_f32_e32 v54, v144, v144                              // 0000000042C0: 0A6D2190
	v_mul_f32_e32 v55, v145, v145                              // 0000000042C4: 0A6F2391
	v_mul_f32_e32 v56, v146, v146                              // 0000000042C8: 0A712592
	v_mul_f32_e32 v57, v147, v147                              // 0000000042CC: 0A732793
	v_fma_f32 v54, v54, s77, v5                                // 0000000042D0: D1CB0036 04149B36
	v_fma_f32 v55, v55, s77, v5                                // 0000000042D8: D1CB0037 04149B37
	v_fma_f32 v56, v56, s77, v5                                // 0000000042E0: D1CB0038 04149B38
	v_fma_f32 v57, v57, s77, v5                                // 0000000042E8: D1CB0039 04149B39
	v_mul_f32_e32 v54, v54, v144                               // 0000000042F0: 0A6D2136
	v_mul_f32_e32 v55, v55, v145                               // 0000000042F4: 0A6F2337
	v_mul_f32_e32 v56, v56, v146                               // 0000000042F8: 0A712538
	v_mul_f32_e32 v57, v57, v147                               // 0000000042FC: 0A732739
	v_mul_f32_e64 v54, v54, s6                                 // 000000004300: D1050036 00000D36
	v_mul_f32_e64 v55, v55, s6                                 // 000000004308: D1050037 00000D37
	v_mul_f32_e64 v56, v56, s6                                 // 000000004310: D1050038 00000D38
	v_mul_f32_e64 v57, v57, s6                                 // 000000004318: D1050039 00000D39
	v_exp_f32_e32 v54, v54                                     // 000000004320: 7E6C4136
	v_exp_f32_e32 v55, v55                                     // 000000004324: 7E6E4137
	v_exp_f32_e32 v56, v56                                     // 000000004328: 7E704138
	buffer_load_dwordx4 a[36:39], v20, s[12:15], 0 offen offset:1024// 00000000432C: E05C1400 80832414
	v_exp_f32_e32 v57, v57                                     // 000000004334: 7E724139
	v_add_f32_e64 v54, v54, 1.0                                // 000000004338: D1010036 0001E536
	v_add_f32_e64 v55, v55, 1.0                                // 000000004340: D1010037 0001E537
	v_add_f32_e64 v56, v56, 1.0                                // 000000004348: D1010038 0001E538
	v_add_f32_e64 v57, v57, 1.0                                // 000000004350: D1010039 0001E539
	v_rcp_f32_e32 v54, v54                                     // 000000004358: 7E6C4536
	v_rcp_f32_e32 v55, v55                                     // 00000000435C: 7E6E4537
	v_rcp_f32_e32 v56, v56                                     // 000000004360: 7E704538
	v_rcp_f32_e32 v57, v57                                     // 000000004364: 7E724539
	v_mul_f32_e32 v144, v144, v54                              // 000000004368: 0B206D90
	v_mul_f32_e32 v145, v145, v55                              // 00000000436C: 0B226F91
	v_mul_f32_e32 v146, v146, v56                              // 000000004370: 0B247192
	v_mul_f32_e32 v147, v147, v57                              // 000000004374: 0B267393
	buffer_load_dwordx4 a[40:43], v20, s[12:15], 0 offen offset:2048// 000000004378: E05C1800 80832814
	v_mul_f32_e32 v54, v148, v148                              // 000000004380: 0A6D2994
	v_mul_f32_e32 v55, v149, v149                              // 000000004384: 0A6F2B95
	v_mul_f32_e32 v56, v150, v150                              // 000000004388: 0A712D96
	v_mul_f32_e32 v57, v151, v151                              // 00000000438C: 0A732F97
	v_fma_f32 v54, v54, s77, v5                                // 000000004390: D1CB0036 04149B36
	v_fma_f32 v55, v55, s77, v5                                // 000000004398: D1CB0037 04149B37
	v_fma_f32 v56, v56, s77, v5                                // 0000000043A0: D1CB0038 04149B38
	v_fma_f32 v57, v57, s77, v5                                // 0000000043A8: D1CB0039 04149B39
	v_mul_f32_e32 v54, v54, v148                               // 0000000043B0: 0A6D2936
	v_mul_f32_e32 v55, v55, v149                               // 0000000043B4: 0A6F2B37
	v_mul_f32_e32 v56, v56, v150                               // 0000000043B8: 0A712D38
	v_mul_f32_e32 v57, v57, v151                               // 0000000043BC: 0A732F39
	v_mul_f32_e64 v54, v54, s6                                 // 0000000043C0: D1050036 00000D36
	v_mul_f32_e64 v55, v55, s6                                 // 0000000043C8: D1050037 00000D37
	v_mul_f32_e64 v56, v56, s6                                 // 0000000043D0: D1050038 00000D38
	v_mul_f32_e64 v57, v57, s6                                 // 0000000043D8: D1050039 00000D39
	v_exp_f32_e32 v54, v54                                     // 0000000043E0: 7E6C4136
	v_exp_f32_e32 v55, v55                                     // 0000000043E4: 7E6E4137
	v_exp_f32_e32 v56, v56                                     // 0000000043E8: 7E704138
	buffer_load_dwordx4 a[44:47], v20, s[12:15], 0 offen offset:3072// 0000000043EC: E05C1C00 80832C14
	v_exp_f32_e32 v57, v57                                     // 0000000043F4: 7E724139
	v_add_f32_e64 v54, v54, 1.0                                // 0000000043F8: D1010036 0001E536
	v_add_f32_e64 v55, v55, 1.0                                // 000000004400: D1010037 0001E537
	v_add_f32_e64 v56, v56, 1.0                                // 000000004408: D1010038 0001E538
	v_add_f32_e64 v57, v57, 1.0                                // 000000004410: D1010039 0001E539
	v_rcp_f32_e32 v54, v54                                     // 000000004418: 7E6C4536
	v_rcp_f32_e32 v55, v55                                     // 00000000441C: 7E6E4537
	v_rcp_f32_e32 v56, v56                                     // 000000004420: 7E704538
	v_rcp_f32_e32 v57, v57                                     // 000000004424: 7E724539
	v_mul_f32_e32 v148, v148, v54                              // 000000004428: 0B286D94
	v_mul_f32_e32 v149, v149, v55                              // 00000000442C: 0B2A6F95
	v_mul_f32_e32 v150, v150, v56                              // 000000004430: 0B2C7196
	v_mul_f32_e32 v151, v151, v57                              // 000000004434: 0B2E7397
	buffer_load_dwordx4 a[48:51], v21, s[12:15], 0 offen       // 000000004438: E05C1000 80833015
	v_mul_f32_e32 v54, v152, v152                              // 000000004440: 0A6D3198
	v_mul_f32_e32 v55, v153, v153                              // 000000004444: 0A6F3399
	v_mul_f32_e32 v56, v154, v154                              // 000000004448: 0A71359A
	v_mul_f32_e32 v57, v155, v155                              // 00000000444C: 0A73379B
	v_fma_f32 v54, v54, s77, v5                                // 000000004450: D1CB0036 04149B36
	v_fma_f32 v55, v55, s77, v5                                // 000000004458: D1CB0037 04149B37
	v_fma_f32 v56, v56, s77, v5                                // 000000004460: D1CB0038 04149B38
	v_fma_f32 v57, v57, s77, v5                                // 000000004468: D1CB0039 04149B39
	v_mul_f32_e32 v54, v54, v152                               // 000000004470: 0A6D3136
	v_mul_f32_e32 v55, v55, v153                               // 000000004474: 0A6F3337
	v_mul_f32_e32 v56, v56, v154                               // 000000004478: 0A713538
	v_mul_f32_e32 v57, v57, v155                               // 00000000447C: 0A733739
	v_mul_f32_e64 v54, v54, s6                                 // 000000004480: D1050036 00000D36
	v_mul_f32_e64 v55, v55, s6                                 // 000000004488: D1050037 00000D37
	v_mul_f32_e64 v56, v56, s6                                 // 000000004490: D1050038 00000D38
	v_mul_f32_e64 v57, v57, s6                                 // 000000004498: D1050039 00000D39
	v_exp_f32_e32 v54, v54                                     // 0000000044A0: 7E6C4136
	v_exp_f32_e32 v55, v55                                     // 0000000044A4: 7E6E4137
	v_exp_f32_e32 v56, v56                                     // 0000000044A8: 7E704138
	buffer_load_dwordx4 a[52:55], v21, s[12:15], 0 offen offset:1024// 0000000044AC: E05C1400 80833415
	v_exp_f32_e32 v57, v57                                     // 0000000044B4: 7E724139
	v_add_f32_e64 v54, v54, 1.0                                // 0000000044B8: D1010036 0001E536
	v_add_f32_e64 v55, v55, 1.0                                // 0000000044C0: D1010037 0001E537
	v_add_f32_e64 v56, v56, 1.0                                // 0000000044C8: D1010038 0001E538
	v_add_f32_e64 v57, v57, 1.0                                // 0000000044D0: D1010039 0001E539
	v_rcp_f32_e32 v54, v54                                     // 0000000044D8: 7E6C4536
	v_rcp_f32_e32 v55, v55                                     // 0000000044DC: 7E6E4537
	v_rcp_f32_e32 v56, v56                                     // 0000000044E0: 7E704538
	v_rcp_f32_e32 v57, v57                                     // 0000000044E4: 7E724539
	v_mul_f32_e32 v152, v152, v54                              // 0000000044E8: 0B306D98
	v_mul_f32_e32 v153, v153, v55                              // 0000000044EC: 0B326F99
	v_mul_f32_e32 v154, v154, v56                              // 0000000044F0: 0B34719A
	v_mul_f32_e32 v155, v155, v57                              // 0000000044F4: 0B36739B
	buffer_load_dwordx4 a[56:59], v21, s[12:15], 0 offen offset:2048// 0000000044F8: E05C1800 80833815
	v_mul_f32_e32 v54, v156, v156                              // 000000004500: 0A6D399C
	v_mul_f32_e32 v55, v157, v157                              // 000000004504: 0A6F3B9D
	v_mul_f32_e32 v56, v158, v158                              // 000000004508: 0A713D9E
	v_mul_f32_e32 v57, v159, v159                              // 00000000450C: 0A733F9F
	v_fma_f32 v54, v54, s77, v5                                // 000000004510: D1CB0036 04149B36
	v_fma_f32 v55, v55, s77, v5                                // 000000004518: D1CB0037 04149B37
	v_fma_f32 v56, v56, s77, v5                                // 000000004520: D1CB0038 04149B38
	v_fma_f32 v57, v57, s77, v5                                // 000000004528: D1CB0039 04149B39
	v_mul_f32_e32 v54, v54, v156                               // 000000004530: 0A6D3936
	v_mul_f32_e32 v55, v55, v157                               // 000000004534: 0A6F3B37
	v_mul_f32_e32 v56, v56, v158                               // 000000004538: 0A713D38
	v_mul_f32_e32 v57, v57, v159                               // 00000000453C: 0A733F39
	v_mul_f32_e64 v54, v54, s6                                 // 000000004540: D1050036 00000D36
	v_mul_f32_e64 v55, v55, s6                                 // 000000004548: D1050037 00000D37
	v_mul_f32_e64 v56, v56, s6                                 // 000000004550: D1050038 00000D38
	v_mul_f32_e64 v57, v57, s6                                 // 000000004558: D1050039 00000D39
	v_exp_f32_e32 v54, v54                                     // 000000004560: 7E6C4136
	v_exp_f32_e32 v55, v55                                     // 000000004564: 7E6E4137
	v_exp_f32_e32 v56, v56                                     // 000000004568: 7E704138
	buffer_load_dwordx4 a[60:63], v21, s[12:15], 0 offen offset:3072// 00000000456C: E05C1C00 80833C15
	v_exp_f32_e32 v57, v57                                     // 000000004574: 7E724139
	v_add_f32_e64 v54, v54, 1.0                                // 000000004578: D1010036 0001E536
	v_add_f32_e64 v55, v55, 1.0                                // 000000004580: D1010037 0001E537
	v_add_f32_e64 v56, v56, 1.0                                // 000000004588: D1010038 0001E538
	v_add_f32_e64 v57, v57, 1.0                                // 000000004590: D1010039 0001E539
	v_rcp_f32_e32 v54, v54                                     // 000000004598: 7E6C4536
	v_rcp_f32_e32 v55, v55                                     // 00000000459C: 7E6E4537
	v_rcp_f32_e32 v56, v56                                     // 0000000045A0: 7E704538
	v_rcp_f32_e32 v57, v57                                     // 0000000045A4: 7E724539
	v_mul_f32_e32 v156, v156, v54                              // 0000000045A8: 0B386D9C
	v_mul_f32_e32 v157, v157, v55                              // 0000000045AC: 0B3A6F9D
	v_mul_f32_e32 v158, v158, v56                              // 0000000045B0: 0B3C719E
	v_mul_f32_e32 v159, v159, v57                              // 0000000045B4: 0B3E739F
	s_waitcnt vmcnt(24)                                        // 0000000045B8: BF8C4F78
	buffer_load_dwordx4 a[64:67], v22, s[12:15], 0 offen       // 0000000045BC: E05C1000 80834016
	v_mul_f32_e32 v54, v160, v160                              // 0000000045C4: 0A6D41A0
	v_mul_f32_e32 v55, v161, v161                              // 0000000045C8: 0A6F43A1
	v_mul_f32_e32 v56, v162, v162                              // 0000000045CC: 0A7145A2
	v_mul_f32_e32 v57, v163, v163                              // 0000000045D0: 0A7347A3
	v_fma_f32 v54, v54, s77, v5                                // 0000000045D4: D1CB0036 04149B36
	v_fma_f32 v55, v55, s77, v5                                // 0000000045DC: D1CB0037 04149B37
	v_fma_f32 v56, v56, s77, v5                                // 0000000045E4: D1CB0038 04149B38
	v_fma_f32 v57, v57, s77, v5                                // 0000000045EC: D1CB0039 04149B39
	v_mul_f32_e32 v54, v54, v160                               // 0000000045F4: 0A6D4136
	v_mul_f32_e32 v55, v55, v161                               // 0000000045F8: 0A6F4337
	v_mul_f32_e32 v56, v56, v162                               // 0000000045FC: 0A714538
	v_mul_f32_e32 v57, v57, v163                               // 000000004600: 0A734739
	v_mul_f32_e64 v54, v54, s6                                 // 000000004604: D1050036 00000D36
	v_mul_f32_e64 v55, v55, s6                                 // 00000000460C: D1050037 00000D37
	v_mul_f32_e64 v56, v56, s6                                 // 000000004614: D1050038 00000D38
	v_mul_f32_e64 v57, v57, s6                                 // 00000000461C: D1050039 00000D39
	v_exp_f32_e32 v54, v54                                     // 000000004624: 7E6C4136
	v_exp_f32_e32 v55, v55                                     // 000000004628: 7E6E4137
	v_exp_f32_e32 v56, v56                                     // 00000000462C: 7E704138
	buffer_load_dwordx4 a[68:71], v22, s[12:15], 0 offen offset:1024// 000000004630: E05C1400 80834416
	v_exp_f32_e32 v57, v57                                     // 000000004638: 7E724139
	v_add_f32_e64 v54, v54, 1.0                                // 00000000463C: D1010036 0001E536
	v_add_f32_e64 v55, v55, 1.0                                // 000000004644: D1010037 0001E537
	v_add_f32_e64 v56, v56, 1.0                                // 00000000464C: D1010038 0001E538
	v_add_f32_e64 v57, v57, 1.0                                // 000000004654: D1010039 0001E539
	v_rcp_f32_e32 v54, v54                                     // 00000000465C: 7E6C4536
	v_rcp_f32_e32 v55, v55                                     // 000000004660: 7E6E4537
	v_rcp_f32_e32 v56, v56                                     // 000000004664: 7E704538
	v_rcp_f32_e32 v57, v57                                     // 000000004668: 7E724539
	v_mul_f32_e32 v160, v160, v54                              // 00000000466C: 0B406DA0
	v_mul_f32_e32 v161, v161, v55                              // 000000004670: 0B426FA1
	v_mul_f32_e32 v162, v162, v56                              // 000000004674: 0B4471A2
	v_mul_f32_e32 v163, v163, v57                              // 000000004678: 0B4673A3
	buffer_load_dwordx4 a[72:75], v22, s[12:15], 0 offen offset:2048// 00000000467C: E05C1800 80834816
	v_mul_f32_e32 v54, v164, v164                              // 000000004684: 0A6D49A4
	v_mul_f32_e32 v55, v165, v165                              // 000000004688: 0A6F4BA5
	v_mul_f32_e32 v56, v166, v166                              // 00000000468C: 0A714DA6
	v_mul_f32_e32 v57, v167, v167                              // 000000004690: 0A734FA7
	v_fma_f32 v54, v54, s77, v5                                // 000000004694: D1CB0036 04149B36
	v_fma_f32 v55, v55, s77, v5                                // 00000000469C: D1CB0037 04149B37
	v_fma_f32 v56, v56, s77, v5                                // 0000000046A4: D1CB0038 04149B38
	v_fma_f32 v57, v57, s77, v5                                // 0000000046AC: D1CB0039 04149B39
	v_mul_f32_e32 v54, v54, v164                               // 0000000046B4: 0A6D4936
	v_mul_f32_e32 v55, v55, v165                               // 0000000046B8: 0A6F4B37
	v_mul_f32_e32 v56, v56, v166                               // 0000000046BC: 0A714D38
	v_mul_f32_e32 v57, v57, v167                               // 0000000046C0: 0A734F39
	v_mul_f32_e64 v54, v54, s6                                 // 0000000046C4: D1050036 00000D36
	v_mul_f32_e64 v55, v55, s6                                 // 0000000046CC: D1050037 00000D37
	v_mul_f32_e64 v56, v56, s6                                 // 0000000046D4: D1050038 00000D38
	v_mul_f32_e64 v57, v57, s6                                 // 0000000046DC: D1050039 00000D39
	v_exp_f32_e32 v54, v54                                     // 0000000046E4: 7E6C4136
	v_exp_f32_e32 v55, v55                                     // 0000000046E8: 7E6E4137
	v_exp_f32_e32 v56, v56                                     // 0000000046EC: 7E704138
	buffer_load_dwordx4 a[76:79], v22, s[12:15], 0 offen offset:3072// 0000000046F0: E05C1C00 80834C16
	v_exp_f32_e32 v57, v57                                     // 0000000046F8: 7E724139
	v_add_f32_e64 v54, v54, 1.0                                // 0000000046FC: D1010036 0001E536
	v_add_f32_e64 v55, v55, 1.0                                // 000000004704: D1010037 0001E537
	v_add_f32_e64 v56, v56, 1.0                                // 00000000470C: D1010038 0001E538
	v_add_f32_e64 v57, v57, 1.0                                // 000000004714: D1010039 0001E539
	v_rcp_f32_e32 v54, v54                                     // 00000000471C: 7E6C4536
	v_rcp_f32_e32 v55, v55                                     // 000000004720: 7E6E4537
	v_rcp_f32_e32 v56, v56                                     // 000000004724: 7E704538
	v_rcp_f32_e32 v57, v57                                     // 000000004728: 7E724539
	v_mul_f32_e32 v164, v164, v54                              // 00000000472C: 0B486DA4
	v_mul_f32_e32 v165, v165, v55                              // 000000004730: 0B4A6FA5
	v_mul_f32_e32 v166, v166, v56                              // 000000004734: 0B4C71A6
	v_mul_f32_e32 v167, v167, v57                              // 000000004738: 0B4E73A7
	buffer_load_dwordx4 a[80:83], v23, s[12:15], 0 offen       // 00000000473C: E05C1000 80835017
	v_mul_f32_e32 v54, v168, v168                              // 000000004744: 0A6D51A8
	v_mul_f32_e32 v55, v169, v169                              // 000000004748: 0A6F53A9
	v_mul_f32_e32 v56, v170, v170                              // 00000000474C: 0A7155AA
	v_mul_f32_e32 v57, v171, v171                              // 000000004750: 0A7357AB
	v_fma_f32 v54, v54, s77, v5                                // 000000004754: D1CB0036 04149B36
	v_fma_f32 v55, v55, s77, v5                                // 00000000475C: D1CB0037 04149B37
	v_fma_f32 v56, v56, s77, v5                                // 000000004764: D1CB0038 04149B38
	v_fma_f32 v57, v57, s77, v5                                // 00000000476C: D1CB0039 04149B39
	v_mul_f32_e32 v54, v54, v168                               // 000000004774: 0A6D5136
	v_mul_f32_e32 v55, v55, v169                               // 000000004778: 0A6F5337
	v_mul_f32_e32 v56, v56, v170                               // 00000000477C: 0A715538
	v_mul_f32_e32 v57, v57, v171                               // 000000004780: 0A735739
	v_mul_f32_e64 v54, v54, s6                                 // 000000004784: D1050036 00000D36
	v_mul_f32_e64 v55, v55, s6                                 // 00000000478C: D1050037 00000D37
	v_mul_f32_e64 v56, v56, s6                                 // 000000004794: D1050038 00000D38
	v_mul_f32_e64 v57, v57, s6                                 // 00000000479C: D1050039 00000D39
	v_exp_f32_e32 v54, v54                                     // 0000000047A4: 7E6C4136
	v_exp_f32_e32 v55, v55                                     // 0000000047A8: 7E6E4137
	v_exp_f32_e32 v56, v56                                     // 0000000047AC: 7E704138
	buffer_load_dwordx4 a[84:87], v23, s[12:15], 0 offen offset:1024// 0000000047B0: E05C1400 80835417
	v_exp_f32_e32 v57, v57                                     // 0000000047B8: 7E724139
	v_add_f32_e64 v54, v54, 1.0                                // 0000000047BC: D1010036 0001E536
	v_add_f32_e64 v55, v55, 1.0                                // 0000000047C4: D1010037 0001E537
	v_add_f32_e64 v56, v56, 1.0                                // 0000000047CC: D1010038 0001E538
	v_add_f32_e64 v57, v57, 1.0                                // 0000000047D4: D1010039 0001E539
	v_rcp_f32_e32 v54, v54                                     // 0000000047DC: 7E6C4536
	v_rcp_f32_e32 v55, v55                                     // 0000000047E0: 7E6E4537
	v_rcp_f32_e32 v56, v56                                     // 0000000047E4: 7E704538
	v_rcp_f32_e32 v57, v57                                     // 0000000047E8: 7E724539
	v_mul_f32_e32 v168, v168, v54                              // 0000000047EC: 0B506DA8
	v_mul_f32_e32 v169, v169, v55                              // 0000000047F0: 0B526FA9
	v_mul_f32_e32 v170, v170, v56                              // 0000000047F4: 0B5471AA
	v_mul_f32_e32 v171, v171, v57                              // 0000000047F8: 0B5673AB
	buffer_load_dwordx4 a[88:91], v23, s[12:15], 0 offen offset:2048// 0000000047FC: E05C1800 80835817
	v_mul_f32_e32 v54, v172, v172                              // 000000004804: 0A6D59AC
	v_mul_f32_e32 v55, v173, v173                              // 000000004808: 0A6F5BAD
	v_mul_f32_e32 v56, v174, v174                              // 00000000480C: 0A715DAE
	v_mul_f32_e32 v57, v175, v175                              // 000000004810: 0A735FAF
	v_fma_f32 v54, v54, s77, v5                                // 000000004814: D1CB0036 04149B36
	v_fma_f32 v55, v55, s77, v5                                // 00000000481C: D1CB0037 04149B37
	v_fma_f32 v56, v56, s77, v5                                // 000000004824: D1CB0038 04149B38
	v_fma_f32 v57, v57, s77, v5                                // 00000000482C: D1CB0039 04149B39
	v_mul_f32_e32 v54, v54, v172                               // 000000004834: 0A6D5936
	v_mul_f32_e32 v55, v55, v173                               // 000000004838: 0A6F5B37
	v_mul_f32_e32 v56, v56, v174                               // 00000000483C: 0A715D38
	v_mul_f32_e32 v57, v57, v175                               // 000000004840: 0A735F39
	v_mul_f32_e64 v54, v54, s6                                 // 000000004844: D1050036 00000D36
	v_mul_f32_e64 v55, v55, s6                                 // 00000000484C: D1050037 00000D37
	v_mul_f32_e64 v56, v56, s6                                 // 000000004854: D1050038 00000D38
	v_mul_f32_e64 v57, v57, s6                                 // 00000000485C: D1050039 00000D39
	v_exp_f32_e32 v54, v54                                     // 000000004864: 7E6C4136
	v_exp_f32_e32 v55, v55                                     // 000000004868: 7E6E4137
	v_exp_f32_e32 v56, v56                                     // 00000000486C: 7E704138
	buffer_load_dwordx4 a[92:95], v23, s[12:15], 0 offen offset:3072// 000000004870: E05C1C00 80835C17
	v_exp_f32_e32 v57, v57                                     // 000000004878: 7E724139
	v_add_f32_e64 v54, v54, 1.0                                // 00000000487C: D1010036 0001E536
	v_add_f32_e64 v55, v55, 1.0                                // 000000004884: D1010037 0001E537
	v_add_f32_e64 v56, v56, 1.0                                // 00000000488C: D1010038 0001E538
	v_add_f32_e64 v57, v57, 1.0                                // 000000004894: D1010039 0001E539
	v_rcp_f32_e32 v54, v54                                     // 00000000489C: 7E6C4536
	v_rcp_f32_e32 v55, v55                                     // 0000000048A0: 7E6E4537
	v_rcp_f32_e32 v56, v56                                     // 0000000048A4: 7E704538
	v_rcp_f32_e32 v57, v57                                     // 0000000048A8: 7E724539
	v_mul_f32_e32 v172, v172, v54                              // 0000000048AC: 0B586DAC
	v_mul_f32_e32 v173, v173, v55                              // 0000000048B0: 0B5A6FAD
	v_mul_f32_e32 v174, v174, v56                              // 0000000048B4: 0B5C71AE
	v_mul_f32_e32 v175, v175, v57                              // 0000000048B8: 0B5E73AF
	s_waitcnt vmcnt(24)                                        // 0000000048BC: BF8C4F78
	buffer_load_dwordx4 a[96:99], v24, s[12:15], 0 offen       // 0000000048C0: E05C1000 80836018
	v_mul_f32_e32 v54, v176, v176                              // 0000000048C8: 0A6D61B0
	v_mul_f32_e32 v55, v177, v177                              // 0000000048CC: 0A6F63B1
	v_mul_f32_e32 v56, v178, v178                              // 0000000048D0: 0A7165B2
	v_mul_f32_e32 v57, v179, v179                              // 0000000048D4: 0A7367B3
	v_fma_f32 v54, v54, s77, v5                                // 0000000048D8: D1CB0036 04149B36
	v_fma_f32 v55, v55, s77, v5                                // 0000000048E0: D1CB0037 04149B37
	v_fma_f32 v56, v56, s77, v5                                // 0000000048E8: D1CB0038 04149B38
	v_fma_f32 v57, v57, s77, v5                                // 0000000048F0: D1CB0039 04149B39
	v_mul_f32_e32 v54, v54, v176                               // 0000000048F8: 0A6D6136
	v_mul_f32_e32 v55, v55, v177                               // 0000000048FC: 0A6F6337
	v_mul_f32_e32 v56, v56, v178                               // 000000004900: 0A716538
	v_mul_f32_e32 v57, v57, v179                               // 000000004904: 0A736739
	v_mul_f32_e64 v54, v54, s6                                 // 000000004908: D1050036 00000D36
	v_mul_f32_e64 v55, v55, s6                                 // 000000004910: D1050037 00000D37
	v_mul_f32_e64 v56, v56, s6                                 // 000000004918: D1050038 00000D38
	v_mul_f32_e64 v57, v57, s6                                 // 000000004920: D1050039 00000D39
	v_exp_f32_e32 v54, v54                                     // 000000004928: 7E6C4136
	v_exp_f32_e32 v55, v55                                     // 00000000492C: 7E6E4137
	v_exp_f32_e32 v56, v56                                     // 000000004930: 7E704138
	buffer_load_dwordx4 a[100:103], v24, s[12:15], 0 offen offset:1024// 000000004934: E05C1400 80836418
	v_exp_f32_e32 v57, v57                                     // 00000000493C: 7E724139
	v_add_f32_e64 v54, v54, 1.0                                // 000000004940: D1010036 0001E536
	v_add_f32_e64 v55, v55, 1.0                                // 000000004948: D1010037 0001E537
	v_add_f32_e64 v56, v56, 1.0                                // 000000004950: D1010038 0001E538
	v_add_f32_e64 v57, v57, 1.0                                // 000000004958: D1010039 0001E539
	v_rcp_f32_e32 v54, v54                                     // 000000004960: 7E6C4536
	v_rcp_f32_e32 v55, v55                                     // 000000004964: 7E6E4537
	v_rcp_f32_e32 v56, v56                                     // 000000004968: 7E704538
	v_rcp_f32_e32 v57, v57                                     // 00000000496C: 7E724539
	v_mul_f32_e32 v176, v176, v54                              // 000000004970: 0B606DB0
	v_mul_f32_e32 v177, v177, v55                              // 000000004974: 0B626FB1
	v_mul_f32_e32 v178, v178, v56                              // 000000004978: 0B6471B2
	v_mul_f32_e32 v179, v179, v57                              // 00000000497C: 0B6673B3
	buffer_load_dwordx4 a[104:107], v24, s[12:15], 0 offen offset:2048// 000000004980: E05C1800 80836818
	v_mul_f32_e32 v54, v180, v180                              // 000000004988: 0A6D69B4
	v_mul_f32_e32 v55, v181, v181                              // 00000000498C: 0A6F6BB5
	v_mul_f32_e32 v56, v182, v182                              // 000000004990: 0A716DB6
	v_mul_f32_e32 v57, v183, v183                              // 000000004994: 0A736FB7
	v_fma_f32 v54, v54, s77, v5                                // 000000004998: D1CB0036 04149B36
	v_fma_f32 v55, v55, s77, v5                                // 0000000049A0: D1CB0037 04149B37
	v_fma_f32 v56, v56, s77, v5                                // 0000000049A8: D1CB0038 04149B38
	v_fma_f32 v57, v57, s77, v5                                // 0000000049B0: D1CB0039 04149B39
	v_mul_f32_e32 v54, v54, v180                               // 0000000049B8: 0A6D6936
	v_mul_f32_e32 v55, v55, v181                               // 0000000049BC: 0A6F6B37
	v_mul_f32_e32 v56, v56, v182                               // 0000000049C0: 0A716D38
	v_mul_f32_e32 v57, v57, v183                               // 0000000049C4: 0A736F39
	v_mul_f32_e64 v54, v54, s6                                 // 0000000049C8: D1050036 00000D36
	v_mul_f32_e64 v55, v55, s6                                 // 0000000049D0: D1050037 00000D37
	v_mul_f32_e64 v56, v56, s6                                 // 0000000049D8: D1050038 00000D38
	v_mul_f32_e64 v57, v57, s6                                 // 0000000049E0: D1050039 00000D39
	v_exp_f32_e32 v54, v54                                     // 0000000049E8: 7E6C4136
	v_exp_f32_e32 v55, v55                                     // 0000000049EC: 7E6E4137
	v_exp_f32_e32 v56, v56                                     // 0000000049F0: 7E704138
	buffer_load_dwordx4 a[108:111], v24, s[12:15], 0 offen offset:3072// 0000000049F4: E05C1C00 80836C18
	v_exp_f32_e32 v57, v57                                     // 0000000049FC: 7E724139
	v_add_f32_e64 v54, v54, 1.0                                // 000000004A00: D1010036 0001E536
	v_add_f32_e64 v55, v55, 1.0                                // 000000004A08: D1010037 0001E537
	v_add_f32_e64 v56, v56, 1.0                                // 000000004A10: D1010038 0001E538
	v_add_f32_e64 v57, v57, 1.0                                // 000000004A18: D1010039 0001E539
	v_rcp_f32_e32 v54, v54                                     // 000000004A20: 7E6C4536
	v_rcp_f32_e32 v55, v55                                     // 000000004A24: 7E6E4537
	v_rcp_f32_e32 v56, v56                                     // 000000004A28: 7E704538
	v_rcp_f32_e32 v57, v57                                     // 000000004A2C: 7E724539
	v_mul_f32_e32 v180, v180, v54                              // 000000004A30: 0B686DB4
	v_mul_f32_e32 v181, v181, v55                              // 000000004A34: 0B6A6FB5
	v_mul_f32_e32 v182, v182, v56                              // 000000004A38: 0B6C71B6
	v_mul_f32_e32 v183, v183, v57                              // 000000004A3C: 0B6E73B7
	buffer_load_dwordx4 a[112:115], v25, s[12:15], 0 offen     // 000000004A40: E05C1000 80837019
	v_mul_f32_e32 v54, v184, v184                              // 000000004A48: 0A6D71B8
	v_mul_f32_e32 v55, v185, v185                              // 000000004A4C: 0A6F73B9
	v_mul_f32_e32 v56, v186, v186                              // 000000004A50: 0A7175BA
	v_mul_f32_e32 v57, v187, v187                              // 000000004A54: 0A7377BB
	v_fma_f32 v54, v54, s77, v5                                // 000000004A58: D1CB0036 04149B36
	v_fma_f32 v55, v55, s77, v5                                // 000000004A60: D1CB0037 04149B37
	v_fma_f32 v56, v56, s77, v5                                // 000000004A68: D1CB0038 04149B38
	v_fma_f32 v57, v57, s77, v5                                // 000000004A70: D1CB0039 04149B39
	v_mul_f32_e32 v54, v54, v184                               // 000000004A78: 0A6D7136
	v_mul_f32_e32 v55, v55, v185                               // 000000004A7C: 0A6F7337
	v_mul_f32_e32 v56, v56, v186                               // 000000004A80: 0A717538
	v_mul_f32_e32 v57, v57, v187                               // 000000004A84: 0A737739
	v_mul_f32_e64 v54, v54, s6                                 // 000000004A88: D1050036 00000D36
	v_mul_f32_e64 v55, v55, s6                                 // 000000004A90: D1050037 00000D37
	v_mul_f32_e64 v56, v56, s6                                 // 000000004A98: D1050038 00000D38
	v_mul_f32_e64 v57, v57, s6                                 // 000000004AA0: D1050039 00000D39
	v_exp_f32_e32 v54, v54                                     // 000000004AA8: 7E6C4136
	v_exp_f32_e32 v55, v55                                     // 000000004AAC: 7E6E4137
	v_exp_f32_e32 v56, v56                                     // 000000004AB0: 7E704138
	buffer_load_dwordx4 a[116:119], v25, s[12:15], 0 offen offset:1024// 000000004AB4: E05C1400 80837419
	v_exp_f32_e32 v57, v57                                     // 000000004ABC: 7E724139
	v_add_f32_e64 v54, v54, 1.0                                // 000000004AC0: D1010036 0001E536
	v_add_f32_e64 v55, v55, 1.0                                // 000000004AC8: D1010037 0001E537
	v_add_f32_e64 v56, v56, 1.0                                // 000000004AD0: D1010038 0001E538
	v_add_f32_e64 v57, v57, 1.0                                // 000000004AD8: D1010039 0001E539
	v_rcp_f32_e32 v54, v54                                     // 000000004AE0: 7E6C4536
	v_rcp_f32_e32 v55, v55                                     // 000000004AE4: 7E6E4537
	v_rcp_f32_e32 v56, v56                                     // 000000004AE8: 7E704538
	v_rcp_f32_e32 v57, v57                                     // 000000004AEC: 7E724539
	v_mul_f32_e32 v184, v184, v54                              // 000000004AF0: 0B706DB8
	v_mul_f32_e32 v185, v185, v55                              // 000000004AF4: 0B726FB9
	v_mul_f32_e32 v186, v186, v56                              // 000000004AF8: 0B7471BA
	v_mul_f32_e32 v187, v187, v57                              // 000000004AFC: 0B7673BB
	buffer_load_dwordx4 a[120:123], v25, s[12:15], 0 offen offset:2048// 000000004B00: E05C1800 80837819
	v_mul_f32_e32 v54, v188, v188                              // 000000004B08: 0A6D79BC
	v_mul_f32_e32 v55, v189, v189                              // 000000004B0C: 0A6F7BBD
	v_mul_f32_e32 v56, v190, v190                              // 000000004B10: 0A717DBE
	v_mul_f32_e32 v57, v191, v191                              // 000000004B14: 0A737FBF
	v_fma_f32 v54, v54, s77, v5                                // 000000004B18: D1CB0036 04149B36
	v_fma_f32 v55, v55, s77, v5                                // 000000004B20: D1CB0037 04149B37
	v_fma_f32 v56, v56, s77, v5                                // 000000004B28: D1CB0038 04149B38
	v_fma_f32 v57, v57, s77, v5                                // 000000004B30: D1CB0039 04149B39
	v_mul_f32_e32 v54, v54, v188                               // 000000004B38: 0A6D7936
	v_mul_f32_e32 v55, v55, v189                               // 000000004B3C: 0A6F7B37
	v_mul_f32_e32 v56, v56, v190                               // 000000004B40: 0A717D38
	v_mul_f32_e32 v57, v57, v191                               // 000000004B44: 0A737F39
	v_mul_f32_e64 v54, v54, s6                                 // 000000004B48: D1050036 00000D36
	v_mul_f32_e64 v55, v55, s6                                 // 000000004B50: D1050037 00000D37
	v_mul_f32_e64 v56, v56, s6                                 // 000000004B58: D1050038 00000D38
	v_mul_f32_e64 v57, v57, s6                                 // 000000004B60: D1050039 00000D39
	v_exp_f32_e32 v54, v54                                     // 000000004B68: 7E6C4136
	v_exp_f32_e32 v55, v55                                     // 000000004B6C: 7E6E4137
	v_exp_f32_e32 v56, v56                                     // 000000004B70: 7E704138
	buffer_load_dwordx4 a[124:127], v25, s[12:15], 0 offen offset:3072// 000000004B74: E05C1C00 80837C19
	v_exp_f32_e32 v57, v57                                     // 000000004B7C: 7E724139
	v_add_f32_e64 v54, v54, 1.0                                // 000000004B80: D1010036 0001E536
	v_add_f32_e64 v55, v55, 1.0                                // 000000004B88: D1010037 0001E537
	v_add_f32_e64 v56, v56, 1.0                                // 000000004B90: D1010038 0001E538
	v_add_f32_e64 v57, v57, 1.0                                // 000000004B98: D1010039 0001E539
	v_rcp_f32_e32 v54, v54                                     // 000000004BA0: 7E6C4536
	v_rcp_f32_e32 v55, v55                                     // 000000004BA4: 7E6E4537
	v_rcp_f32_e32 v56, v56                                     // 000000004BA8: 7E704538
	v_rcp_f32_e32 v57, v57                                     // 000000004BAC: 7E724539
	v_mul_f32_e32 v188, v188, v54                              // 000000004BB0: 0B786DBC
	v_mul_f32_e32 v189, v189, v55                              // 000000004BB4: 0B7A6FBD
	v_mul_f32_e32 v190, v190, v56                              // 000000004BB8: 0B7C71BE
	v_mul_f32_e32 v191, v191, v57                              // 000000004BBC: 0B7E73BF
	v_cmp_u_f32_e64 s[34:35], v128, v128                       // 000000004BC0: D0480022 00030180
	v_add3_u32 v50, v128, v53, 1                               // 000000004BC8: D1FF0032 02066B80
	v_cndmask_b32_e64 v54, v50, v52, s[34:35]                  // 000000004BD0: D1000036 008A6932
	v_cmp_u_f32_e64 s[34:35], v129, v129                       // 000000004BD8: D0480022 00030381
	v_add3_u32 v50, v129, v53, 1                               // 000000004BE0: D1FF0032 02066B81
	v_cndmask_b32_e64 v55, v50, v52, s[34:35]                  // 000000004BE8: D1000037 008A6932
	v_perm_b32 v128, v55, v54, s52                             // 000000004BF0: D1ED0080 00D26D37
	v_cmp_u_f32_e64 s[34:35], v130, v130                       // 000000004BF8: D0480022 00030582
	v_add3_u32 v50, v130, v53, 1                               // 000000004C00: D1FF0032 02066B82
	v_cndmask_b32_e64 v54, v50, v52, s[34:35]                  // 000000004C08: D1000036 008A6932
	v_cmp_u_f32_e64 s[34:35], v131, v131                       // 000000004C10: D0480022 00030783
	v_add3_u32 v50, v131, v53, 1                               // 000000004C18: D1FF0032 02066B83
	v_cndmask_b32_e64 v55, v50, v52, s[34:35]                  // 000000004C20: D1000037 008A6932
	v_perm_b32 v129, v55, v54, s52                             // 000000004C28: D1ED0081 00D26D37
	v_cmp_u_f32_e64 s[34:35], v132, v132                       // 000000004C30: D0480022 00030984
	v_add3_u32 v50, v132, v53, 1                               // 000000004C38: D1FF0032 02066B84
	v_cndmask_b32_e64 v54, v50, v52, s[34:35]                  // 000000004C40: D1000036 008A6932
	v_cmp_u_f32_e64 s[34:35], v133, v133                       // 000000004C48: D0480022 00030B85
	v_add3_u32 v50, v133, v53, 1                               // 000000004C50: D1FF0032 02066B85
	v_cndmask_b32_e64 v55, v50, v52, s[34:35]                  // 000000004C58: D1000037 008A6932
	v_perm_b32 v130, v55, v54, s52                             // 000000004C60: D1ED0082 00D26D37
	v_cmp_u_f32_e64 s[34:35], v134, v134                       // 000000004C68: D0480022 00030D86
	v_add3_u32 v50, v134, v53, 1                               // 000000004C70: D1FF0032 02066B86
	v_cndmask_b32_e64 v54, v50, v52, s[34:35]                  // 000000004C78: D1000036 008A6932
	v_cmp_u_f32_e64 s[34:35], v135, v135                       // 000000004C80: D0480022 00030F87
	v_add3_u32 v50, v135, v53, 1                               // 000000004C88: D1FF0032 02066B87
	v_cndmask_b32_e64 v55, v50, v52, s[34:35]                  // 000000004C90: D1000037 008A6932
	v_perm_b32 v131, v55, v54, s52                             // 000000004C98: D1ED0083 00D26D37
	v_cmp_u_f32_e64 s[34:35], v136, v136                       // 000000004CA0: D0480022 00031188
	v_add3_u32 v50, v136, v53, 1                               // 000000004CA8: D1FF0032 02066B88
	v_cndmask_b32_e64 v54, v50, v52, s[34:35]                  // 000000004CB0: D1000036 008A6932
	v_cmp_u_f32_e64 s[34:35], v137, v137                       // 000000004CB8: D0480022 00031389
	v_add3_u32 v50, v137, v53, 1                               // 000000004CC0: D1FF0032 02066B89
	v_cndmask_b32_e64 v55, v50, v52, s[34:35]                  // 000000004CC8: D1000037 008A6932
	v_perm_b32 v132, v55, v54, s52                             // 000000004CD0: D1ED0084 00D26D37
	v_cmp_u_f32_e64 s[34:35], v138, v138                       // 000000004CD8: D0480022 0003158A
	v_add3_u32 v50, v138, v53, 1                               // 000000004CE0: D1FF0032 02066B8A
	v_cndmask_b32_e64 v54, v50, v52, s[34:35]                  // 000000004CE8: D1000036 008A6932
	v_cmp_u_f32_e64 s[34:35], v139, v139                       // 000000004CF0: D0480022 0003178B
	v_add3_u32 v50, v139, v53, 1                               // 000000004CF8: D1FF0032 02066B8B
	v_cndmask_b32_e64 v55, v50, v52, s[34:35]                  // 000000004D00: D1000037 008A6932
	v_perm_b32 v133, v55, v54, s52                             // 000000004D08: D1ED0085 00D26D37
	v_cmp_u_f32_e64 s[34:35], v140, v140                       // 000000004D10: D0480022 0003198C
	v_add3_u32 v50, v140, v53, 1                               // 000000004D18: D1FF0032 02066B8C
	v_cndmask_b32_e64 v54, v50, v52, s[34:35]                  // 000000004D20: D1000036 008A6932
	v_cmp_u_f32_e64 s[34:35], v141, v141                       // 000000004D28: D0480022 00031B8D
	v_add3_u32 v50, v141, v53, 1                               // 000000004D30: D1FF0032 02066B8D
	v_cndmask_b32_e64 v55, v50, v52, s[34:35]                  // 000000004D38: D1000037 008A6932
	v_perm_b32 v134, v55, v54, s52                             // 000000004D40: D1ED0086 00D26D37
	v_cmp_u_f32_e64 s[34:35], v142, v142                       // 000000004D48: D0480022 00031D8E
	v_add3_u32 v50, v142, v53, 1                               // 000000004D50: D1FF0032 02066B8E
	v_cndmask_b32_e64 v54, v50, v52, s[34:35]                  // 000000004D58: D1000036 008A6932
	v_cmp_u_f32_e64 s[34:35], v143, v143                       // 000000004D60: D0480022 00031F8F
	v_add3_u32 v50, v143, v53, 1                               // 000000004D68: D1FF0032 02066B8F
	v_cndmask_b32_e64 v55, v50, v52, s[34:35]                  // 000000004D70: D1000037 008A6932
	v_perm_b32 v135, v55, v54, s52                             // 000000004D78: D1ED0087 00D26D37
	v_cmp_u_f32_e64 s[34:35], v144, v144                       // 000000004D80: D0480022 00032190
	v_add3_u32 v50, v144, v53, 1                               // 000000004D88: D1FF0032 02066B90
	v_cndmask_b32_e64 v54, v50, v52, s[34:35]                  // 000000004D90: D1000036 008A6932
	v_cmp_u_f32_e64 s[34:35], v145, v145                       // 000000004D98: D0480022 00032391
	v_add3_u32 v50, v145, v53, 1                               // 000000004DA0: D1FF0032 02066B91
	v_cndmask_b32_e64 v55, v50, v52, s[34:35]                  // 000000004DA8: D1000037 008A6932
	v_perm_b32 v136, v55, v54, s52                             // 000000004DB0: D1ED0088 00D26D37
	v_cmp_u_f32_e64 s[34:35], v146, v146                       // 000000004DB8: D0480022 00032592
	v_add3_u32 v50, v146, v53, 1                               // 000000004DC0: D1FF0032 02066B92
	v_cndmask_b32_e64 v54, v50, v52, s[34:35]                  // 000000004DC8: D1000036 008A6932
	v_cmp_u_f32_e64 s[34:35], v147, v147                       // 000000004DD0: D0480022 00032793
	v_add3_u32 v50, v147, v53, 1                               // 000000004DD8: D1FF0032 02066B93
	v_cndmask_b32_e64 v55, v50, v52, s[34:35]                  // 000000004DE0: D1000037 008A6932
	v_perm_b32 v137, v55, v54, s52                             // 000000004DE8: D1ED0089 00D26D37
	v_cmp_u_f32_e64 s[34:35], v148, v148                       // 000000004DF0: D0480022 00032994
	v_add3_u32 v50, v148, v53, 1                               // 000000004DF8: D1FF0032 02066B94
	v_cndmask_b32_e64 v54, v50, v52, s[34:35]                  // 000000004E00: D1000036 008A6932
	v_cmp_u_f32_e64 s[34:35], v149, v149                       // 000000004E08: D0480022 00032B95
	v_add3_u32 v50, v149, v53, 1                               // 000000004E10: D1FF0032 02066B95
	v_cndmask_b32_e64 v55, v50, v52, s[34:35]                  // 000000004E18: D1000037 008A6932
	v_perm_b32 v138, v55, v54, s52                             // 000000004E20: D1ED008A 00D26D37
	v_cmp_u_f32_e64 s[34:35], v150, v150                       // 000000004E28: D0480022 00032D96
	v_add3_u32 v50, v150, v53, 1                               // 000000004E30: D1FF0032 02066B96
	v_cndmask_b32_e64 v54, v50, v52, s[34:35]                  // 000000004E38: D1000036 008A6932
	v_cmp_u_f32_e64 s[34:35], v151, v151                       // 000000004E40: D0480022 00032F97
	v_add3_u32 v50, v151, v53, 1                               // 000000004E48: D1FF0032 02066B97
	v_cndmask_b32_e64 v55, v50, v52, s[34:35]                  // 000000004E50: D1000037 008A6932
	v_perm_b32 v139, v55, v54, s52                             // 000000004E58: D1ED008B 00D26D37
	v_cmp_u_f32_e64 s[34:35], v152, v152                       // 000000004E60: D0480022 00033198
	v_add3_u32 v50, v152, v53, 1                               // 000000004E68: D1FF0032 02066B98
	v_cndmask_b32_e64 v54, v50, v52, s[34:35]                  // 000000004E70: D1000036 008A6932
	v_cmp_u_f32_e64 s[34:35], v153, v153                       // 000000004E78: D0480022 00033399
	v_add3_u32 v50, v153, v53, 1                               // 000000004E80: D1FF0032 02066B99
	v_cndmask_b32_e64 v55, v50, v52, s[34:35]                  // 000000004E88: D1000037 008A6932
	v_perm_b32 v140, v55, v54, s52                             // 000000004E90: D1ED008C 00D26D37
	v_cmp_u_f32_e64 s[34:35], v154, v154                       // 000000004E98: D0480022 0003359A
	v_add3_u32 v50, v154, v53, 1                               // 000000004EA0: D1FF0032 02066B9A
	v_cndmask_b32_e64 v54, v50, v52, s[34:35]                  // 000000004EA8: D1000036 008A6932
	v_cmp_u_f32_e64 s[34:35], v155, v155                       // 000000004EB0: D0480022 0003379B
	v_add3_u32 v50, v155, v53, 1                               // 000000004EB8: D1FF0032 02066B9B
	v_cndmask_b32_e64 v55, v50, v52, s[34:35]                  // 000000004EC0: D1000037 008A6932
	v_perm_b32 v141, v55, v54, s52                             // 000000004EC8: D1ED008D 00D26D37
	v_cmp_u_f32_e64 s[34:35], v156, v156                       // 000000004ED0: D0480022 0003399C
	v_add3_u32 v50, v156, v53, 1                               // 000000004ED8: D1FF0032 02066B9C
	v_cndmask_b32_e64 v54, v50, v52, s[34:35]                  // 000000004EE0: D1000036 008A6932
	v_cmp_u_f32_e64 s[34:35], v157, v157                       // 000000004EE8: D0480022 00033B9D
	v_add3_u32 v50, v157, v53, 1                               // 000000004EF0: D1FF0032 02066B9D
	v_cndmask_b32_e64 v55, v50, v52, s[34:35]                  // 000000004EF8: D1000037 008A6932
	v_perm_b32 v142, v55, v54, s52                             // 000000004F00: D1ED008E 00D26D37
	v_cmp_u_f32_e64 s[34:35], v158, v158                       // 000000004F08: D0480022 00033D9E
	v_add3_u32 v50, v158, v53, 1                               // 000000004F10: D1FF0032 02066B9E
	v_cndmask_b32_e64 v54, v50, v52, s[34:35]                  // 000000004F18: D1000036 008A6932
	v_cmp_u_f32_e64 s[34:35], v159, v159                       // 000000004F20: D0480022 00033F9F
	v_add3_u32 v50, v159, v53, 1                               // 000000004F28: D1FF0032 02066B9F
	v_cndmask_b32_e64 v55, v50, v52, s[34:35]                  // 000000004F30: D1000037 008A6932
	v_perm_b32 v143, v55, v54, s52                             // 000000004F38: D1ED008F 00D26D37
	v_cmp_u_f32_e64 s[34:35], v160, v160                       // 000000004F40: D0480022 000341A0
	v_add3_u32 v50, v160, v53, 1                               // 000000004F48: D1FF0032 02066BA0
	v_cndmask_b32_e64 v54, v50, v52, s[34:35]                  // 000000004F50: D1000036 008A6932
	v_cmp_u_f32_e64 s[34:35], v161, v161                       // 000000004F58: D0480022 000343A1
	v_add3_u32 v50, v161, v53, 1                               // 000000004F60: D1FF0032 02066BA1
	v_cndmask_b32_e64 v55, v50, v52, s[34:35]                  // 000000004F68: D1000037 008A6932
	v_perm_b32 v144, v55, v54, s52                             // 000000004F70: D1ED0090 00D26D37
	v_cmp_u_f32_e64 s[34:35], v162, v162                       // 000000004F78: D0480022 000345A2
	v_add3_u32 v50, v162, v53, 1                               // 000000004F80: D1FF0032 02066BA2
	v_cndmask_b32_e64 v54, v50, v52, s[34:35]                  // 000000004F88: D1000036 008A6932
	v_cmp_u_f32_e64 s[34:35], v163, v163                       // 000000004F90: D0480022 000347A3
	v_add3_u32 v50, v163, v53, 1                               // 000000004F98: D1FF0032 02066BA3
	v_cndmask_b32_e64 v55, v50, v52, s[34:35]                  // 000000004FA0: D1000037 008A6932
	v_perm_b32 v145, v55, v54, s52                             // 000000004FA8: D1ED0091 00D26D37
	v_cmp_u_f32_e64 s[34:35], v164, v164                       // 000000004FB0: D0480022 000349A4
	v_add3_u32 v50, v164, v53, 1                               // 000000004FB8: D1FF0032 02066BA4
	v_cndmask_b32_e64 v54, v50, v52, s[34:35]                  // 000000004FC0: D1000036 008A6932
	v_cmp_u_f32_e64 s[34:35], v165, v165                       // 000000004FC8: D0480022 00034BA5
	v_add3_u32 v50, v165, v53, 1                               // 000000004FD0: D1FF0032 02066BA5
	v_cndmask_b32_e64 v55, v50, v52, s[34:35]                  // 000000004FD8: D1000037 008A6932
	v_perm_b32 v146, v55, v54, s52                             // 000000004FE0: D1ED0092 00D26D37
	v_cmp_u_f32_e64 s[34:35], v166, v166                       // 000000004FE8: D0480022 00034DA6
	v_add3_u32 v50, v166, v53, 1                               // 000000004FF0: D1FF0032 02066BA6
	v_cndmask_b32_e64 v54, v50, v52, s[34:35]                  // 000000004FF8: D1000036 008A6932
	v_cmp_u_f32_e64 s[34:35], v167, v167                       // 000000005000: D0480022 00034FA7
	v_add3_u32 v50, v167, v53, 1                               // 000000005008: D1FF0032 02066BA7
	v_cndmask_b32_e64 v55, v50, v52, s[34:35]                  // 000000005010: D1000037 008A6932
	v_perm_b32 v147, v55, v54, s52                             // 000000005018: D1ED0093 00D26D37
	v_cmp_u_f32_e64 s[34:35], v168, v168                       // 000000005020: D0480022 000351A8
	v_add3_u32 v50, v168, v53, 1                               // 000000005028: D1FF0032 02066BA8
	v_cndmask_b32_e64 v54, v50, v52, s[34:35]                  // 000000005030: D1000036 008A6932
	v_cmp_u_f32_e64 s[34:35], v169, v169                       // 000000005038: D0480022 000353A9
	v_add3_u32 v50, v169, v53, 1                               // 000000005040: D1FF0032 02066BA9
	v_cndmask_b32_e64 v55, v50, v52, s[34:35]                  // 000000005048: D1000037 008A6932
	v_perm_b32 v148, v55, v54, s52                             // 000000005050: D1ED0094 00D26D37
	v_cmp_u_f32_e64 s[34:35], v170, v170                       // 000000005058: D0480022 000355AA
	v_add3_u32 v50, v170, v53, 1                               // 000000005060: D1FF0032 02066BAA
	v_cndmask_b32_e64 v54, v50, v52, s[34:35]                  // 000000005068: D1000036 008A6932
	v_cmp_u_f32_e64 s[34:35], v171, v171                       // 000000005070: D0480022 000357AB
	v_add3_u32 v50, v171, v53, 1                               // 000000005078: D1FF0032 02066BAB
	v_cndmask_b32_e64 v55, v50, v52, s[34:35]                  // 000000005080: D1000037 008A6932
	v_perm_b32 v149, v55, v54, s52                             // 000000005088: D1ED0095 00D26D37
	v_cmp_u_f32_e64 s[34:35], v172, v172                       // 000000005090: D0480022 000359AC
	v_add3_u32 v50, v172, v53, 1                               // 000000005098: D1FF0032 02066BAC
	v_cndmask_b32_e64 v54, v50, v52, s[34:35]                  // 0000000050A0: D1000036 008A6932
	v_cmp_u_f32_e64 s[34:35], v173, v173                       // 0000000050A8: D0480022 00035BAD
	v_add3_u32 v50, v173, v53, 1                               // 0000000050B0: D1FF0032 02066BAD
	v_cndmask_b32_e64 v55, v50, v52, s[34:35]                  // 0000000050B8: D1000037 008A6932
	v_perm_b32 v150, v55, v54, s52                             // 0000000050C0: D1ED0096 00D26D37
	v_cmp_u_f32_e64 s[34:35], v174, v174                       // 0000000050C8: D0480022 00035DAE
	v_add3_u32 v50, v174, v53, 1                               // 0000000050D0: D1FF0032 02066BAE
	v_cndmask_b32_e64 v54, v50, v52, s[34:35]                  // 0000000050D8: D1000036 008A6932
	v_cmp_u_f32_e64 s[34:35], v175, v175                       // 0000000050E0: D0480022 00035FAF
	v_add3_u32 v50, v175, v53, 1                               // 0000000050E8: D1FF0032 02066BAF
	v_cndmask_b32_e64 v55, v50, v52, s[34:35]                  // 0000000050F0: D1000037 008A6932
	v_perm_b32 v151, v55, v54, s52                             // 0000000050F8: D1ED0097 00D26D37
	v_cmp_u_f32_e64 s[34:35], v176, v176                       // 000000005100: D0480022 000361B0
	v_add3_u32 v50, v176, v53, 1                               // 000000005108: D1FF0032 02066BB0
	v_cndmask_b32_e64 v54, v50, v52, s[34:35]                  // 000000005110: D1000036 008A6932
	v_cmp_u_f32_e64 s[34:35], v177, v177                       // 000000005118: D0480022 000363B1
	v_add3_u32 v50, v177, v53, 1                               // 000000005120: D1FF0032 02066BB1
	v_cndmask_b32_e64 v55, v50, v52, s[34:35]                  // 000000005128: D1000037 008A6932
	v_perm_b32 v152, v55, v54, s52                             // 000000005130: D1ED0098 00D26D37
	v_cmp_u_f32_e64 s[34:35], v178, v178                       // 000000005138: D0480022 000365B2
	v_add3_u32 v50, v178, v53, 1                               // 000000005140: D1FF0032 02066BB2
	v_cndmask_b32_e64 v54, v50, v52, s[34:35]                  // 000000005148: D1000036 008A6932
	v_cmp_u_f32_e64 s[34:35], v179, v179                       // 000000005150: D0480022 000367B3
	v_add3_u32 v50, v179, v53, 1                               // 000000005158: D1FF0032 02066BB3
	v_cndmask_b32_e64 v55, v50, v52, s[34:35]                  // 000000005160: D1000037 008A6932
	v_perm_b32 v153, v55, v54, s52                             // 000000005168: D1ED0099 00D26D37
	v_cmp_u_f32_e64 s[34:35], v180, v180                       // 000000005170: D0480022 000369B4
	v_add3_u32 v50, v180, v53, 1                               // 000000005178: D1FF0032 02066BB4
	v_cndmask_b32_e64 v54, v50, v52, s[34:35]                  // 000000005180: D1000036 008A6932
	v_cmp_u_f32_e64 s[34:35], v181, v181                       // 000000005188: D0480022 00036BB5
	v_add3_u32 v50, v181, v53, 1                               // 000000005190: D1FF0032 02066BB5
	v_cndmask_b32_e64 v55, v50, v52, s[34:35]                  // 000000005198: D1000037 008A6932
	v_perm_b32 v154, v55, v54, s52                             // 0000000051A0: D1ED009A 00D26D37
	v_cmp_u_f32_e64 s[34:35], v182, v182                       // 0000000051A8: D0480022 00036DB6
	v_add3_u32 v50, v182, v53, 1                               // 0000000051B0: D1FF0032 02066BB6
	v_cndmask_b32_e64 v54, v50, v52, s[34:35]                  // 0000000051B8: D1000036 008A6932
	v_cmp_u_f32_e64 s[34:35], v183, v183                       // 0000000051C0: D0480022 00036FB7
	v_add3_u32 v50, v183, v53, 1                               // 0000000051C8: D1FF0032 02066BB7
	v_cndmask_b32_e64 v55, v50, v52, s[34:35]                  // 0000000051D0: D1000037 008A6932
	v_perm_b32 v155, v55, v54, s52                             // 0000000051D8: D1ED009B 00D26D37
	v_cmp_u_f32_e64 s[34:35], v184, v184                       // 0000000051E0: D0480022 000371B8
	v_add3_u32 v50, v184, v53, 1                               // 0000000051E8: D1FF0032 02066BB8
	v_cndmask_b32_e64 v54, v50, v52, s[34:35]                  // 0000000051F0: D1000036 008A6932
	v_cmp_u_f32_e64 s[34:35], v185, v185                       // 0000000051F8: D0480022 000373B9
	v_add3_u32 v50, v185, v53, 1                               // 000000005200: D1FF0032 02066BB9
	v_cndmask_b32_e64 v55, v50, v52, s[34:35]                  // 000000005208: D1000037 008A6932
	v_perm_b32 v156, v55, v54, s52                             // 000000005210: D1ED009C 00D26D37
	v_cmp_u_f32_e64 s[34:35], v186, v186                       // 000000005218: D0480022 000375BA
	v_add3_u32 v50, v186, v53, 1                               // 000000005220: D1FF0032 02066BBA
	v_cndmask_b32_e64 v54, v50, v52, s[34:35]                  // 000000005228: D1000036 008A6932
	v_cmp_u_f32_e64 s[34:35], v187, v187                       // 000000005230: D0480022 000377BB
	v_add3_u32 v50, v187, v53, 1                               // 000000005238: D1FF0032 02066BBB
	v_cndmask_b32_e64 v55, v50, v52, s[34:35]                  // 000000005240: D1000037 008A6932
	v_perm_b32 v157, v55, v54, s52                             // 000000005248: D1ED009D 00D26D37
	v_cmp_u_f32_e64 s[34:35], v188, v188                       // 000000005250: D0480022 000379BC
	v_add3_u32 v50, v188, v53, 1                               // 000000005258: D1FF0032 02066BBC
	v_cndmask_b32_e64 v54, v50, v52, s[34:35]                  // 000000005260: D1000036 008A6932
	v_cmp_u_f32_e64 s[34:35], v189, v189                       // 000000005268: D0480022 00037BBD
	v_add3_u32 v50, v189, v53, 1                               // 000000005270: D1FF0032 02066BBD
	v_cndmask_b32_e64 v55, v50, v52, s[34:35]                  // 000000005278: D1000037 008A6932
	v_perm_b32 v158, v55, v54, s52                             // 000000005280: D1ED009E 00D26D37
	v_cmp_u_f32_e64 s[34:35], v190, v190                       // 000000005288: D0480022 00037DBE
	v_add3_u32 v50, v190, v53, 1                               // 000000005290: D1FF0032 02066BBE
	v_cndmask_b32_e64 v54, v50, v52, s[34:35]                  // 000000005298: D1000036 008A6932
	v_cmp_u_f32_e64 s[34:35], v191, v191                       // 0000000052A0: D0480022 00037FBF
	v_add3_u32 v50, v191, v53, 1                               // 0000000052A8: D1FF0032 02066BBF
	v_cndmask_b32_e64 v55, v50, v52, s[34:35]                  // 0000000052B0: D1000037 008A6932
	v_perm_b32 v159, v55, v54, s52                             // 0000000052B8: D1ED009F 00D26D37
	v_lshlrev_b32_e32 v54, 3, v0                               // 0000000052C0: 246C0083
	s_mul_i32 s60, 0x200, s7                                   // 0000000052C4: 923C07FF 00000200
	v_add_u32_e64 v54, v54, s60                                // 0000000052CC: D1340036 00007936
	ds_write_b64 v54, v[128:129] offset:16640                  // 0000000052D4: D89A4100 00008036
	ds_write_b64 v54, v[130:131] offset:33024                  // 0000000052DC: D89A8100 00008236
	ds_write_b64 v54, v[132:133] offset:18688                  // 0000000052E4: D89A4900 00008436
	ds_write_b64 v54, v[134:135] offset:35072                  // 0000000052EC: D89A8900 00008636
	ds_write_b64 v54, v[136:137] offset:20736                  // 0000000052F4: D89A5100 00008836
	ds_write_b64 v54, v[138:139] offset:37120                  // 0000000052FC: D89A9100 00008A36
	ds_write_b64 v54, v[140:141] offset:22784                  // 000000005304: D89A5900 00008C36
	ds_write_b64 v54, v[142:143] offset:39168                  // 00000000530C: D89A9900 00008E36
	ds_write_b64 v54, v[144:145] offset:24832                  // 000000005314: D89A6100 00009036
	ds_write_b64 v54, v[146:147] offset:41216                  // 00000000531C: D89AA100 00009236
	ds_write_b64 v54, v[148:149] offset:26880                  // 000000005324: D89A6900 00009436
	ds_write_b64 v54, v[150:151] offset:43264                  // 00000000532C: D89AA900 00009636
	ds_write_b64 v54, v[152:153] offset:28928                  // 000000005334: D89A7100 00009836
	ds_write_b64 v54, v[154:155] offset:45312                  // 00000000533C: D89AB100 00009A36
	ds_write_b64 v54, v[156:157] offset:30976                  // 000000005344: D89A7900 00009C36
	ds_write_b64 v54, v[158:159] offset:47360                  // 00000000534C: D89AB900 00009E36
	s_waitcnt lgkmcnt(0)                                       // 000000005354: BF8CC07F
	s_barrier                                                  // 000000005358: BF8A0000
	v_lshrrev_b32_e32 v54, 4, v0                               // 00000000535C: 206C0084
	v_lshlrev_b32_e32 v55, 6, v54                              // 000000005360: 246E6C86
	v_and_b32_e32 v54, 15, v0                                  // 000000005364: 266C008F
	v_lshlrev_b32_e32 v54, 1, v54                              // 000000005368: 246C6C81
	v_add_u32_e32 v55, v54, v55                                // 00000000536C: 686E6F36
	v_lshlrev_b32_e32 v54, 2, v55                              // 000000005370: 246C6E82
	ds_read_b64 v[128:129], v54 offset:16640                   // 000000005374: D8EC4100 80000036
	ds_read_b64 v[130:131], v54 offset:16768                   // 00000000537C: D8EC4180 82000036
	ds_read_b64 v[132:133], v54 offset:17664                   // 000000005384: D8EC4500 84000036
	ds_read_b64 v[134:135], v54 offset:17792                   // 00000000538C: D8EC4580 86000036
	ds_read_b64 v[136:137], v54 offset:18688                   // 000000005394: D8EC4900 88000036
	ds_read_b64 v[138:139], v54 offset:18816                   // 00000000539C: D8EC4980 8A000036
	ds_read_b64 v[140:141], v54 offset:19712                   // 0000000053A4: D8EC4D00 8C000036
	ds_read_b64 v[142:143], v54 offset:19840                   // 0000000053AC: D8EC4D80 8E000036
	ds_read_b64 v[144:145], v54 offset:20736                   // 0000000053B4: D8EC5100 90000036
	ds_read_b64 v[146:147], v54 offset:20864                   // 0000000053BC: D8EC5180 92000036
	ds_read_b64 v[148:149], v54 offset:21760                   // 0000000053C4: D8EC5500 94000036
	ds_read_b64 v[150:151], v54 offset:21888                   // 0000000053CC: D8EC5580 96000036
	ds_read_b64 v[152:153], v54 offset:22784                   // 0000000053D4: D8EC5900 98000036
	ds_read_b64 v[154:155], v54 offset:22912                   // 0000000053DC: D8EC5980 9A000036
	ds_read_b64 v[156:157], v54 offset:23808                   // 0000000053E4: D8EC5D00 9C000036
	ds_read_b64 v[158:159], v54 offset:23936                   // 0000000053EC: D8EC5D80 9E000036
	ds_read_b64 v[160:161], v54 offset:24832                   // 0000000053F4: D8EC6100 A0000036
	ds_read_b64 v[162:163], v54 offset:24960                   // 0000000053FC: D8EC6180 A2000036
	ds_read_b64 v[164:165], v54 offset:25856                   // 000000005404: D8EC6500 A4000036
	ds_read_b64 v[166:167], v54 offset:25984                   // 00000000540C: D8EC6580 A6000036
	ds_read_b64 v[168:169], v54 offset:26880                   // 000000005414: D8EC6900 A8000036
	ds_read_b64 v[170:171], v54 offset:27008                   // 00000000541C: D8EC6980 AA000036
	ds_read_b64 v[172:173], v54 offset:27904                   // 000000005424: D8EC6D00 AC000036
	ds_read_b64 v[174:175], v54 offset:28032                   // 00000000542C: D8EC6D80 AE000036
	ds_read_b64 v[176:177], v54 offset:28928                   // 000000005434: D8EC7100 B0000036
	ds_read_b64 v[178:179], v54 offset:29056                   // 00000000543C: D8EC7180 B2000036
	ds_read_b64 v[180:181], v54 offset:29952                   // 000000005444: D8EC7500 B4000036
	ds_read_b64 v[182:183], v54 offset:30080                   // 00000000544C: D8EC7580 B6000036
	ds_read_b64 v[184:185], v54 offset:30976                   // 000000005454: D8EC7900 B8000036
	ds_read_b64 v[186:187], v54 offset:31104                   // 00000000545C: D8EC7980 BA000036
	ds_read_b64 v[188:189], v54 offset:32000                   // 000000005464: D8EC7D00 BC000036
	ds_read_b64 v[190:191], v54 offset:32128                   // 00000000546C: D8EC7D80 BE000036
	ds_read_b64 v[192:193], v54 offset:33024                   // 000000005474: D8EC8100 C0000036
	ds_read_b64 v[194:195], v54 offset:33152                   // 00000000547C: D8EC8180 C2000036
	ds_read_b64 v[196:197], v54 offset:34048                   // 000000005484: D8EC8500 C4000036
	ds_read_b64 v[198:199], v54 offset:34176                   // 00000000548C: D8EC8580 C6000036
	ds_read_b64 v[200:201], v54 offset:35072                   // 000000005494: D8EC8900 C8000036
	ds_read_b64 v[202:203], v54 offset:35200                   // 00000000549C: D8EC8980 CA000036
	ds_read_b64 v[204:205], v54 offset:36096                   // 0000000054A4: D8EC8D00 CC000036
	ds_read_b64 v[206:207], v54 offset:36224                   // 0000000054AC: D8EC8D80 CE000036
	ds_read_b64 v[208:209], v54 offset:37120                   // 0000000054B4: D8EC9100 D0000036
	ds_read_b64 v[210:211], v54 offset:37248                   // 0000000054BC: D8EC9180 D2000036
	ds_read_b64 v[212:213], v54 offset:38144                   // 0000000054C4: D8EC9500 D4000036
	ds_read_b64 v[214:215], v54 offset:38272                   // 0000000054CC: D8EC9580 D6000036
	ds_read_b64 v[216:217], v54 offset:39168                   // 0000000054D4: D8EC9900 D8000036
	ds_read_b64 v[218:219], v54 offset:39296                   // 0000000054DC: D8EC9980 DA000036
	ds_read_b64 v[220:221], v54 offset:40192                   // 0000000054E4: D8EC9D00 DC000036
	ds_read_b64 v[222:223], v54 offset:40320                   // 0000000054EC: D8EC9D80 DE000036
	ds_read_b64 v[224:225], v54 offset:41216                   // 0000000054F4: D8ECA100 E0000036
	ds_read_b64 v[226:227], v54 offset:41344                   // 0000000054FC: D8ECA180 E2000036
	ds_read_b64 v[228:229], v54 offset:42240                   // 000000005504: D8ECA500 E4000036
	ds_read_b64 v[230:231], v54 offset:42368                   // 00000000550C: D8ECA580 E6000036
	ds_read_b64 v[232:233], v54 offset:43264                   // 000000005514: D8ECA900 E8000036
	ds_read_b64 v[234:235], v54 offset:43392                   // 00000000551C: D8ECA980 EA000036
	ds_read_b64 v[236:237], v54 offset:44288                   // 000000005524: D8ECAD00 EC000036
	ds_read_b64 v[238:239], v54 offset:44416                   // 00000000552C: D8ECAD80 EE000036
	ds_read_b64 v[240:241], v54 offset:45312                   // 000000005534: D8ECB100 F0000036
	ds_read_b64 v[242:243], v54 offset:45440                   // 00000000553C: D8ECB180 F2000036
	ds_read_b64 v[244:245], v54 offset:46336                   // 000000005544: D8ECB500 F4000036
	ds_read_b64 v[246:247], v54 offset:46464                   // 00000000554C: D8ECB580 F6000036
	ds_read_b64 v[248:249], v54 offset:47360                   // 000000005554: D8ECB900 F8000036
	ds_read_b64 v[250:251], v54 offset:47488                   // 00000000555C: D8ECB980 FA000036
	ds_read_b64 v[252:253], v54 offset:48384                   // 000000005564: D8ECBD00 FC000036
	ds_read_b64 v[254:255], v54 offset:48512                   // 00000000556C: D8ECBD80 FE000036
	s_add_u32 s12, s56, s12                                    // 000000005574: 800C0C38
	s_addc_u32 s13, 0, s13                                     // 000000005578: 820D0D80
	v_mov_b32_e32 v64, 0                                       // 00000000557C: 7E800280
	v_mov_b32_e32 v80, 0                                       // 000000005580: 7EA00280
	v_mov_b32_e32 v65, 0                                       // 000000005584: 7E820280
	v_mov_b32_e32 v81, 0                                       // 000000005588: 7EA20280
	v_mov_b32_e32 v66, 0                                       // 00000000558C: 7E840280
	v_mov_b32_e32 v82, 0                                       // 000000005590: 7EA40280
	v_mov_b32_e32 v67, 0                                       // 000000005594: 7E860280
	v_mov_b32_e32 v83, 0                                       // 000000005598: 7EA60280
	v_mov_b32_e32 v68, 0                                       // 00000000559C: 7E880280
	v_mov_b32_e32 v84, 0                                       // 0000000055A0: 7EA80280
	v_mov_b32_e32 v69, 0                                       // 0000000055A4: 7E8A0280
	v_mov_b32_e32 v85, 0                                       // 0000000055A8: 7EAA0280
	v_mov_b32_e32 v70, 0                                       // 0000000055AC: 7E8C0280
	v_mov_b32_e32 v86, 0                                       // 0000000055B0: 7EAC0280
	v_mov_b32_e32 v71, 0                                       // 0000000055B4: 7E8E0280
	v_mov_b32_e32 v87, 0                                       // 0000000055B8: 7EAE0280
	ds_write_b64 v3, v[64:65] offset:16640                     // 0000000055BC: D89A4100 00004003
	ds_write_b64 v3, v[66:67] offset:20992                     // 0000000055C4: D89A5200 00004203
	ds_write_b64 v3, v[68:69] offset:18816                     // 0000000055CC: D89A4980 00004403
	ds_write_b64 v3, v[70:71] offset:23168                     // 0000000055D4: D89A5A80 00004603
	s_mov_b32 s80, 0                                           // 0000000055DC: BED00080
	s_waitcnt vmcnt(24)                                        // 0000000055E0: BF8C4F78

00000000000055e4 <label_0AB9>:
	s_waitcnt vmcnt(30) lgkmcnt(0)                             // 0000000055E4: BF8C407E
	s_barrier                                                  // 0000000055E8: BF8A0000
	v_mfma_f32_16x16x16_bf16 v[64:67], a[0:1], v[128:129], 0   // 0000000055EC: D3E10040 0A030100
	ds_read_b32 v10, v4 offset:16640                           // 0000000055F4: D86C4100 0A000004
	ds_read_b32 v11, v4 offset:16672                           // 0000000055FC: D86C4120 0B000004
	v_mfma_f32_16x16x16_bf16 v[64:67], a[2:3], v[130:131], v[64:67]// 000000005604: D3E10040 0D030502
	buffer_load_dwordx4 a[128:131], v18, s[12:15], 0 offen     // 00000000560C: E05C1000 80838012
	v_mfma_f32_16x16x16_bf16 v[64:67], a[4:5], v[132:133], v[64:67]// 000000005614: D3E10040 0D030904
	ds_read_b32 v12, v4 offset:16704                           // 00000000561C: D86C4140 0C000004
	ds_read_b32 v13, v4 offset:16736                           // 000000005624: D86C4160 0D000004
	v_mfma_f32_16x16x16_bf16 v[64:67], a[6:7], v[134:135], v[64:67]// 00000000562C: D3E10040 0D030D06
	v_mfma_f32_16x16x16_bf16 v[64:67], a[8:9], v[136:137], v[64:67]// 000000005634: D3E10040 0D031108
	ds_read_b32 v14, v4 offset:20992                           // 00000000563C: D86C5200 0E000004
	ds_read_b32 v15, v4 offset:21024                           // 000000005644: D86C5220 0F000004
	v_mfma_f32_16x16x16_bf16 v[64:67], a[10:11], v[138:139], v[64:67]// 00000000564C: D3E10040 0D03150A
	buffer_load_dwordx4 a[132:135], v18, s[12:15], 0 offen offset:1024// 000000005654: E05C1400 80838412
	v_mfma_f32_16x16x16_bf16 v[64:67], a[12:13], v[140:141], v[64:67]// 00000000565C: D3E10040 0D03190C
	ds_read_b32 v16, v4 offset:21056                           // 000000005664: D86C5240 10000004
	ds_read_b32 v17, v4 offset:21088                           // 00000000566C: D86C5260 11000004
	v_mfma_f32_16x16x16_bf16 v[64:67], a[14:15], v[142:143], v[64:67]// 000000005674: D3E10040 0D031D0E
	v_mfma_f32_16x16x16_bf16 v[68:71], a[0:1], v[192:193], 0   // 00000000567C: D3E10044 0A038100
	v_mfma_f32_16x16x16_bf16 v[68:71], a[2:3], v[194:195], v[68:71]// 000000005684: D3E10044 0D138502
	buffer_load_dwordx4 a[136:139], v18, s[12:15], 0 offen offset:2048// 00000000568C: E05C1800 80838812
	v_mfma_f32_16x16x16_bf16 v[68:71], a[4:5], v[196:197], v[68:71]// 000000005694: D3E10044 0D138904
	v_mfma_f32_16x16x16_bf16 v[68:71], a[6:7], v[198:199], v[68:71]// 00000000569C: D3E10044 0D138D06
	v_mfma_f32_16x16x16_bf16 v[68:71], a[8:9], v[200:201], v[68:71]// 0000000056A4: D3E10044 0D139108
	v_mfma_f32_16x16x16_bf16 v[68:71], a[10:11], v[202:203], v[68:71]// 0000000056AC: D3E10044 0D13950A
	buffer_load_dwordx4 a[140:143], v18, s[12:15], 0 offen offset:3072// 0000000056B4: E05C1C00 80838C12
	v_mfma_f32_16x16x16_bf16 v[68:71], a[12:13], v[204:205], v[68:71]// 0000000056BC: D3E10044 0D13990C
	v_mfma_f32_16x16x16_bf16 v[68:71], a[14:15], v[206:207], v[68:71]// 0000000056C4: D3E10044 0D139D0E
	s_waitcnt lgkmcnt(0)                                       // 0000000056CC: BF8CC07F
	s_mov_b64 exec, s[16:17]                                   // 0000000056D0: BEFE0110
	global_atomic_pk_add_bf16 v34, v10, s[8:9]                 // 0000000056D4: DD488000 00080A22
	s_mov_b64 exec, s[38:39]                                   // 0000000056DC: BEFE0126
	v_mfma_f32_16x16x16_bf16 v[72:75], a[16:17], v[128:129], 0 // 0000000056E0: D3E10048 0A030110
	v_mfma_f32_16x16x16_bf16 v[72:75], a[18:19], v[130:131], v[72:75]// 0000000056E8: D3E10048 0D230512
	buffer_load_dwordx4 a[144:147], v19, s[12:15], 0 offen     // 0000000056F0: E05C1000 80839013
	v_mfma_f32_16x16x16_bf16 v[72:75], a[20:21], v[132:133], v[72:75]// 0000000056F8: D3E10048 0D230914
	v_mfma_f32_16x16x16_bf16 v[72:75], a[22:23], v[134:135], v[72:75]// 000000005700: D3E10048 0D230D16
	v_mfma_f32_16x16x16_bf16 v[72:75], a[24:25], v[136:137], v[72:75]// 000000005708: D3E10048 0D231118
	v_mfma_f32_16x16x16_bf16 v[72:75], a[26:27], v[138:139], v[72:75]// 000000005710: D3E10048 0D23151A
	buffer_load_dwordx4 a[148:151], v19, s[12:15], 0 offen offset:1024// 000000005718: E05C1400 80839413
	v_mfma_f32_16x16x16_bf16 v[72:75], a[28:29], v[140:141], v[72:75]// 000000005720: D3E10048 0D23191C
	v_mfma_f32_16x16x16_bf16 v[72:75], a[30:31], v[142:143], v[72:75]// 000000005728: D3E10048 0D231D1E
	v_mfma_f32_16x16x16_bf16 v[76:79], a[16:17], v[192:193], 0 // 000000005730: D3E1004C 0A038110
	v_mfma_f32_16x16x16_bf16 v[76:79], a[18:19], v[194:195], v[76:79]// 000000005738: D3E1004C 0D338512
	buffer_load_dwordx4 a[152:155], v19, s[12:15], 0 offen offset:2048// 000000005740: E05C1800 80839813
	v_mfma_f32_16x16x16_bf16 v[76:79], a[20:21], v[196:197], v[76:79]// 000000005748: D3E1004C 0D338914
	v_mfma_f32_16x16x16_bf16 v[76:79], a[22:23], v[198:199], v[76:79]// 000000005750: D3E1004C 0D338D16
	v_mfma_f32_16x16x16_bf16 v[76:79], a[24:25], v[200:201], v[76:79]// 000000005758: D3E1004C 0D339118
	v_mfma_f32_16x16x16_bf16 v[76:79], a[26:27], v[202:203], v[76:79]// 000000005760: D3E1004C 0D33951A
	buffer_load_dwordx4 a[156:159], v19, s[12:15], 0 offen offset:3072// 000000005768: E05C1C00 80839C13
	v_mfma_f32_16x16x16_bf16 v[76:79], a[28:29], v[204:205], v[76:79]// 000000005770: D3E1004C 0D33991C
	v_mfma_f32_16x16x16_bf16 v[76:79], a[30:31], v[206:207], v[76:79]// 000000005778: D3E1004C 0D339D1E
	s_mov_b64 exec, s[18:19]                                   // 000000005780: BEFE0112
	global_atomic_pk_add_bf16 v36, v11, s[8:9]                 // 000000005784: DD488000 00080B24
	s_mov_b64 exec, s[38:39]                                   // 00000000578C: BEFE0126
	s_waitcnt vmcnt(30)                                        // 000000005790: BF8C4F7E
	v_mfma_f32_16x16x16_bf16 v[64:67], a[32:33], v[144:145], v[64:67]// 000000005794: D3E10040 0D032120
	ds_write_b64 v3, v[80:81] offset:25344                     // 00000000579C: D89A6300 00005003
	v_mfma_f32_16x16x16_bf16 v[64:67], a[34:35], v[146:147], v[64:67]// 0000000057A4: D3E10040 0D032522
	buffer_load_dwordx4 a[160:163], v20, s[12:15], 0 offen     // 0000000057AC: E05C1000 8083A014
	v_mfma_f32_16x16x16_bf16 v[64:67], a[36:37], v[148:149], v[64:67]// 0000000057B4: D3E10040 0D032924
	ds_write_b64 v3, v[82:83] offset:29696                     // 0000000057BC: D89A7400 00005203
	v_mfma_f32_16x16x16_bf16 v[64:67], a[38:39], v[150:151], v[64:67]// 0000000057C4: D3E10040 0D032D26
	v_mfma_f32_16x16x16_bf16 v[64:67], a[40:41], v[152:153], v[64:67]// 0000000057CC: D3E10040 0D033128
	ds_write_b64 v3, v[84:85] offset:27520                     // 0000000057D4: D89A6B80 00005403
	v_mfma_f32_16x16x16_bf16 v[64:67], a[42:43], v[154:155], v[64:67]// 0000000057DC: D3E10040 0D03352A
	buffer_load_dwordx4 a[164:167], v20, s[12:15], 0 offen offset:1024// 0000000057E4: E05C1400 8083A414
	v_mfma_f32_16x16x16_bf16 v[64:67], a[44:45], v[156:157], v[64:67]// 0000000057EC: D3E10040 0D03392C
	ds_write_b64 v3, v[86:87] offset:31872                     // 0000000057F4: D89A7C80 00005603
	v_mfma_f32_16x16x16_bf16 v[64:67], a[46:47], v[158:159], v[64:67]// 0000000057FC: D3E10040 0D033D2E
	v_mfma_f32_16x16x16_bf16 v[68:71], a[32:33], v[208:209], v[68:71]// 000000005804: D3E10044 0D13A120
	v_mfma_f32_16x16x16_bf16 v[68:71], a[34:35], v[210:211], v[68:71]// 00000000580C: D3E10044 0D13A522
	buffer_load_dwordx4 a[168:171], v20, s[12:15], 0 offen offset:2048// 000000005814: E05C1800 8083A814
	v_mfma_f32_16x16x16_bf16 v[68:71], a[36:37], v[212:213], v[68:71]// 00000000581C: D3E10044 0D13A924
	v_mfma_f32_16x16x16_bf16 v[68:71], a[38:39], v[214:215], v[68:71]// 000000005824: D3E10044 0D13AD26
	v_mfma_f32_16x16x16_bf16 v[68:71], a[40:41], v[216:217], v[68:71]// 00000000582C: D3E10044 0D13B128
	v_mfma_f32_16x16x16_bf16 v[68:71], a[42:43], v[218:219], v[68:71]// 000000005834: D3E10044 0D13B52A
	buffer_load_dwordx4 a[172:175], v20, s[12:15], 0 offen offset:3072// 00000000583C: E05C1C00 8083AC14
	v_mfma_f32_16x16x16_bf16 v[68:71], a[44:45], v[220:221], v[68:71]// 000000005844: D3E10044 0D13B92C
	v_mfma_f32_16x16x16_bf16 v[68:71], a[46:47], v[222:223], v[68:71]// 00000000584C: D3E10044 0D13BD2E
	s_mov_b64 exec, s[20:21]                                   // 000000005854: BEFE0114
	global_atomic_pk_add_bf16 v38, v12, s[8:9]                 // 000000005858: DD488000 00080C26
	s_mov_b64 exec, s[38:39]                                   // 000000005860: BEFE0126
	v_mfma_f32_16x16x16_bf16 v[72:75], a[48:49], v[144:145], v[72:75]// 000000005864: D3E10048 0D232130
	v_mfma_f32_16x16x16_bf16 v[72:75], a[50:51], v[146:147], v[72:75]// 00000000586C: D3E10048 0D232532
	buffer_load_dwordx4 a[176:179], v21, s[12:15], 0 offen     // 000000005874: E05C1000 8083B015
	v_mfma_f32_16x16x16_bf16 v[72:75], a[52:53], v[148:149], v[72:75]// 00000000587C: D3E10048 0D232934
	v_mfma_f32_16x16x16_bf16 v[72:75], a[54:55], v[150:151], v[72:75]// 000000005884: D3E10048 0D232D36
	v_mfma_f32_16x16x16_bf16 v[72:75], a[56:57], v[152:153], v[72:75]// 00000000588C: D3E10048 0D233138
	v_mfma_f32_16x16x16_bf16 v[72:75], a[58:59], v[154:155], v[72:75]// 000000005894: D3E10048 0D23353A
	buffer_load_dwordx4 a[180:183], v21, s[12:15], 0 offen offset:1024// 00000000589C: E05C1400 8083B415
	v_mfma_f32_16x16x16_bf16 v[72:75], a[60:61], v[156:157], v[72:75]// 0000000058A4: D3E10048 0D23393C
	v_mfma_f32_16x16x16_bf16 v[72:75], a[62:63], v[158:159], v[72:75]// 0000000058AC: D3E10048 0D233D3E
	v_mfma_f32_16x16x16_bf16 v[76:79], a[48:49], v[208:209], v[76:79]// 0000000058B4: D3E1004C 0D33A130
	v_mfma_f32_16x16x16_bf16 v[76:79], a[50:51], v[210:211], v[76:79]// 0000000058BC: D3E1004C 0D33A532
	buffer_load_dwordx4 a[184:187], v21, s[12:15], 0 offen offset:2048// 0000000058C4: E05C1800 8083B815
	v_mfma_f32_16x16x16_bf16 v[76:79], a[52:53], v[212:213], v[76:79]// 0000000058CC: D3E1004C 0D33A934
	v_mfma_f32_16x16x16_bf16 v[76:79], a[54:55], v[214:215], v[76:79]// 0000000058D4: D3E1004C 0D33AD36
	v_mfma_f32_16x16x16_bf16 v[76:79], a[56:57], v[216:217], v[76:79]// 0000000058DC: D3E1004C 0D33B138
	v_mfma_f32_16x16x16_bf16 v[76:79], a[58:59], v[218:219], v[76:79]// 0000000058E4: D3E1004C 0D33B53A
	buffer_load_dwordx4 a[188:191], v21, s[12:15], 0 offen offset:3072// 0000000058EC: E05C1C00 8083BC15
	v_mfma_f32_16x16x16_bf16 v[76:79], a[60:61], v[220:221], v[76:79]// 0000000058F4: D3E1004C 0D33B93C
	v_mfma_f32_16x16x16_bf16 v[76:79], a[62:63], v[222:223], v[76:79]// 0000000058FC: D3E1004C 0D33BD3E
	s_mov_b64 exec, s[22:23]                                   // 000000005904: BEFE0116
	global_atomic_pk_add_bf16 v40, v13, s[8:9]                 // 000000005908: DD488000 00080D28
	s_mov_b64 exec, s[38:39]                                   // 000000005910: BEFE0126
	s_waitcnt vmcnt(30)                                        // 000000005914: BF8C4F7E
	v_mfma_f32_16x16x16_bf16 v[64:67], a[64:65], v[160:161], v[64:67]// 000000005918: D3E10040 0D034140
	v_mfma_f32_16x16x16_bf16 v[64:67], a[66:67], v[162:163], v[64:67]// 000000005920: D3E10040 0D034542
	buffer_load_dwordx4 a[192:195], v22, s[12:15], 0 offen     // 000000005928: E05C1000 8083C016
	v_mfma_f32_16x16x16_bf16 v[64:67], a[68:69], v[164:165], v[64:67]// 000000005930: D3E10040 0D034944
	s_add_u32 s60, 0x100, s80                                  // 000000005938: 803C50FF 00000100
	s_cmp_lt_u32 s60, s81                                      // 000000005940: BF0A513C
	s_cselect_b32 s56, s56, 0                                  // 000000005944: 85388038
	v_mfma_f32_16x16x16_bf16 v[64:67], a[70:71], v[166:167], v[64:67]// 000000005948: D3E10040 0D034D46
	v_mfma_f32_16x16x16_bf16 v[64:67], a[72:73], v[168:169], v[64:67]// 000000005950: D3E10040 0D035148
	v_mfma_f32_16x16x16_bf16 v[64:67], a[74:75], v[170:171], v[64:67]// 000000005958: D3E10040 0D03554A
	buffer_load_dwordx4 a[196:199], v22, s[12:15], 0 offen offset:1024// 000000005960: E05C1400 8083C416
	v_mfma_f32_16x16x16_bf16 v[64:67], a[76:77], v[172:173], v[64:67]// 000000005968: D3E10040 0D03594C
	s_cmp_ge_u32 s80, 0x100                                    // 000000005970: BF09FF50 00000100
	s_cselect_b32 s59, 0x100, s59                              // 000000005978: 853B3BFF 00000100
	v_mfma_f32_16x16x16_bf16 v[64:67], a[78:79], v[174:175], v[64:67]// 000000005980: D3E10040 0D035D4E
	v_mfma_f32_16x16x16_bf16 v[68:71], a[64:65], v[224:225], v[68:71]// 000000005988: D3E10044 0D13C140
	v_mfma_f32_16x16x16_bf16 v[68:71], a[66:67], v[226:227], v[68:71]// 000000005990: D3E10044 0D13C542
	buffer_load_dwordx4 a[200:203], v22, s[12:15], 0 offen offset:2048// 000000005998: E05C1800 8083C816
	v_mfma_f32_16x16x16_bf16 v[68:71], a[68:69], v[228:229], v[68:71]// 0000000059A0: D3E10044 0D13C944
	s_add_u32 s16, s57, s16                                    // 0000000059A8: 80101039
	s_addc_u32 s17, 0, s17                                     // 0000000059AC: 82111180
	v_mfma_f32_16x16x16_bf16 v[68:71], a[70:71], v[230:231], v[68:71]// 0000000059B0: D3E10044 0D13CD46
	v_mfma_f32_16x16x16_bf16 v[68:71], a[72:73], v[232:233], v[68:71]// 0000000059B8: D3E10044 0D13D148
	v_mfma_f32_16x16x16_bf16 v[68:71], a[74:75], v[234:235], v[68:71]// 0000000059C0: D3E10044 0D13D54A
	buffer_load_dwordx4 a[204:207], v22, s[12:15], 0 offen offset:3072// 0000000059C8: E05C1C00 8083CC16
	v_mfma_f32_16x16x16_bf16 v[68:71], a[76:77], v[236:237], v[68:71]// 0000000059D0: D3E10044 0D13D94C
	v_mfma_f32_16x16x16_bf16 v[68:71], a[78:79], v[238:239], v[68:71]// 0000000059D8: D3E10044 0D13DD4E
	s_mov_b64 exec, s[24:25]                                   // 0000000059E0: BEFE0118
	global_atomic_pk_add_bf16 v42, v14, s[8:9]                 // 0000000059E4: DD488000 00080E2A
	s_mov_b64 exec, s[38:39]                                   // 0000000059EC: BEFE0126
	v_mfma_f32_16x16x16_bf16 v[72:75], a[80:81], v[160:161], v[72:75]// 0000000059F0: D3E10048 0D234150
	v_mfma_f32_16x16x16_bf16 v[72:75], a[82:83], v[162:163], v[72:75]// 0000000059F8: D3E10048 0D234552
	buffer_load_dwordx4 a[208:211], v23, s[12:15], 0 offen     // 000000005A00: E05C1000 8083D017
	v_mfma_f32_16x16x16_bf16 v[72:75], a[84:85], v[164:165], v[72:75]// 000000005A08: D3E10048 0D234954
	v_mfma_f32_16x16x16_bf16 v[72:75], a[86:87], v[166:167], v[72:75]// 000000005A10: D3E10048 0D234D56
	v_mfma_f32_16x16x16_bf16 v[72:75], a[88:89], v[168:169], v[72:75]// 000000005A18: D3E10048 0D235158
	v_mfma_f32_16x16x16_bf16 v[72:75], a[90:91], v[170:171], v[72:75]// 000000005A20: D3E10048 0D23555A
	buffer_load_dwordx4 a[212:215], v23, s[12:15], 0 offen offset:1024// 000000005A28: E05C1400 8083D417
	v_mfma_f32_16x16x16_bf16 v[72:75], a[92:93], v[172:173], v[72:75]// 000000005A30: D3E10048 0D23595C
	v_mfma_f32_16x16x16_bf16 v[72:75], a[94:95], v[174:175], v[72:75]// 000000005A38: D3E10048 0D235D5E
	v_mfma_f32_16x16x16_bf16 v[76:79], a[80:81], v[224:225], v[76:79]// 000000005A40: D3E1004C 0D33C150
	v_mfma_f32_16x16x16_bf16 v[76:79], a[82:83], v[226:227], v[76:79]// 000000005A48: D3E1004C 0D33C552
	buffer_load_dwordx4 a[216:219], v23, s[12:15], 0 offen offset:2048// 000000005A50: E05C1800 8083D817
	v_mfma_f32_16x16x16_bf16 v[76:79], a[84:85], v[228:229], v[76:79]// 000000005A58: D3E1004C 0D33C954
	v_mfma_f32_16x16x16_bf16 v[76:79], a[86:87], v[230:231], v[76:79]// 000000005A60: D3E1004C 0D33CD56
	v_mfma_f32_16x16x16_bf16 v[76:79], a[88:89], v[232:233], v[76:79]// 000000005A68: D3E1004C 0D33D158
	v_mfma_f32_16x16x16_bf16 v[76:79], a[90:91], v[234:235], v[76:79]// 000000005A70: D3E1004C 0D33D55A
	buffer_load_dwordx4 a[220:223], v23, s[12:15], 0 offen offset:3072// 000000005A78: E05C1C00 8083DC17
	v_mfma_f32_16x16x16_bf16 v[76:79], a[92:93], v[236:237], v[76:79]// 000000005A80: D3E1004C 0D33D95C
	v_mfma_f32_16x16x16_bf16 v[76:79], a[94:95], v[238:239], v[76:79]// 000000005A88: D3E1004C 0D33DD5E
	s_mov_b64 exec, s[26:27]                                   // 000000005A90: BEFE011A
	global_atomic_pk_add_bf16 v44, v15, s[8:9]                 // 000000005A94: DD488000 00080F2C
	s_mov_b64 exec, s[38:39]                                   // 000000005A9C: BEFE0126
	s_waitcnt vmcnt(30)                                        // 000000005AA0: BF8C4F7E
	v_mfma_f32_16x16x16_bf16 v[64:67], a[96:97], v[176:177], v[64:67]// 000000005AA4: D3E10040 0D036160
	v_mfma_f32_16x16x16_bf16 v[64:67], a[98:99], v[178:179], v[64:67]// 000000005AAC: D3E10040 0D036562
	buffer_load_dwordx4 a[224:227], v24, s[12:15], 0 offen     // 000000005AB4: E05C1000 8083E018
	v_mfma_f32_16x16x16_bf16 v[64:67], a[100:101], v[180:181], v[64:67]// 000000005ABC: D3E10040 0D036964
	v_mfma_f32_16x16x16_bf16 v[64:67], a[102:103], v[182:183], v[64:67]// 000000005AC4: D3E10040 0D036D66
	v_mfma_f32_16x16x16_bf16 v[64:67], a[104:105], v[184:185], v[64:67]// 000000005ACC: D3E10040 0D037168
	v_mfma_f32_16x16x16_bf16 v[64:67], a[106:107], v[186:187], v[64:67]// 000000005AD4: D3E10040 0D03756A
	buffer_load_dwordx4 a[228:231], v24, s[12:15], 0 offen offset:1024// 000000005ADC: E05C1400 8083E418
	v_mfma_f32_16x16x16_bf16 v[64:67], a[108:109], v[188:189], v[64:67]// 000000005AE4: D3E10040 0D03796C
	v_mfma_f32_16x16x16_bf16 v[64:67], a[110:111], v[190:191], v[64:67]// 000000005AEC: D3E10040 0D037D6E
	v_mfma_f32_16x16x16_bf16 v[68:71], a[96:97], v[240:241], v[68:71]// 000000005AF4: D3E10044 0D13E160
	v_mfma_f32_16x16x16_bf16 v[68:71], a[98:99], v[242:243], v[68:71]// 000000005AFC: D3E10044 0D13E562
	buffer_load_dwordx4 a[232:235], v24, s[12:15], 0 offen offset:2048// 000000005B04: E05C1800 8083E818
	v_mfma_f32_16x16x16_bf16 v[68:71], a[100:101], v[244:245], v[68:71]// 000000005B0C: D3E10044 0D13E964
	v_mfma_f32_16x16x16_bf16 v[68:71], a[102:103], v[246:247], v[68:71]// 000000005B14: D3E10044 0D13ED66
	v_mfma_f32_16x16x16_bf16 v[68:71], a[104:105], v[248:249], v[68:71]// 000000005B1C: D3E10044 0D13F168
	v_mfma_f32_16x16x16_bf16 v[68:71], a[106:107], v[250:251], v[68:71]// 000000005B24: D3E10044 0D13F56A
	buffer_load_dwordx4 a[236:239], v24, s[12:15], 0 offen offset:3072// 000000005B2C: E05C1C00 8083EC18
	v_mfma_f32_16x16x16_bf16 v[68:71], a[108:109], v[252:253], v[68:71]// 000000005B34: D3E10044 0D13F96C
	v_mfma_f32_16x16x16_bf16 v[68:71], a[110:111], v[254:255], v[68:71]// 000000005B3C: D3E10044 0D13FD6E
	s_mov_b64 exec, s[28:29]                                   // 000000005B44: BEFE011C
	global_atomic_pk_add_bf16 v46, v16, s[8:9]                 // 000000005B48: DD488000 0008102E
	s_mov_b64 exec, s[38:39]                                   // 000000005B50: BEFE0126
	v_mfma_f32_16x16x16_bf16 v[72:75], a[112:113], v[176:177], v[72:75]// 000000005B54: D3E10048 0D236170
	v_mfma_f32_16x16x16_bf16 v[72:75], a[114:115], v[178:179], v[72:75]// 000000005B5C: D3E10048 0D236572
	buffer_load_dwordx4 a[240:243], v25, s[12:15], 0 offen     // 000000005B64: E05C1000 8083F019
	v_mfma_f32_16x16x16_bf16 v[72:75], a[116:117], v[180:181], v[72:75]// 000000005B6C: D3E10048 0D236974
	v_mfma_f32_16x16x16_bf16 v[72:75], a[118:119], v[182:183], v[72:75]// 000000005B74: D3E10048 0D236D76
	v_mfma_f32_16x16x16_bf16 v[72:75], a[120:121], v[184:185], v[72:75]// 000000005B7C: D3E10048 0D237178
	v_mfma_f32_16x16x16_bf16 v[72:75], a[122:123], v[186:187], v[72:75]// 000000005B84: D3E10048 0D23757A
	buffer_load_dwordx4 a[244:247], v25, s[12:15], 0 offen offset:1024// 000000005B8C: E05C1400 8083F419
	v_mfma_f32_16x16x16_bf16 v[72:75], a[124:125], v[188:189], v[72:75]// 000000005B94: D3E10048 0D23797C
	v_mfma_f32_16x16x16_bf16 v[72:75], a[126:127], v[190:191], v[72:75]// 000000005B9C: D3E10048 0D237D7E
	v_mfma_f32_16x16x16_bf16 v[76:79], a[112:113], v[240:241], v[76:79]// 000000005BA4: D3E1004C 0D33E170
	v_mfma_f32_16x16x16_bf16 v[76:79], a[114:115], v[242:243], v[76:79]// 000000005BAC: D3E1004C 0D33E572
	buffer_load_dwordx4 a[248:251], v25, s[12:15], 0 offen offset:2048// 000000005BB4: E05C1800 8083F819
	v_mfma_f32_16x16x16_bf16 v[76:79], a[116:117], v[244:245], v[76:79]// 000000005BBC: D3E1004C 0D33E974
	v_mfma_f32_16x16x16_bf16 v[76:79], a[118:119], v[246:247], v[76:79]// 000000005BC4: D3E1004C 0D33ED76
	v_mfma_f32_16x16x16_bf16 v[76:79], a[120:121], v[248:249], v[76:79]// 000000005BCC: D3E1004C 0D33F178
	v_mfma_f32_16x16x16_bf16 v[76:79], a[122:123], v[250:251], v[76:79]// 000000005BD4: D3E1004C 0D33F57A
	buffer_load_dwordx4 a[252:255], v25, s[12:15], 0 offen offset:3072// 000000005BDC: E05C1C00 8083FC19
	v_mfma_f32_16x16x16_bf16 v[76:79], a[124:125], v[252:253], v[76:79]// 000000005BE4: D3E1004C 0D33F97C
	s_add_u32 s12, s56, s12                                    // 000000005BEC: 800C0C38
	s_addc_u32 s13, 0, s13                                     // 000000005BF0: 820D0D80
	v_mfma_f32_16x16x16_bf16 v[76:79], a[126:127], v[254:255], v[76:79]// 000000005BF4: D3E1004C 0D33FD7E
	s_mov_b64 exec, s[30:31]                                   // 000000005BFC: BEFE011E
	global_atomic_pk_add_bf16 v48, v17, s[8:9]                 // 000000005C00: DD488000 00081130
	s_mov_b64 exec, s[38:39]                                   // 000000005C08: BEFE0126
	s_add_u32 s8, s59, s8                                      // 000000005C0C: 8008083B
	s_addc_u32 s9, 0, s9                                       // 000000005C10: 82090980
	v_mul_f32_e32 v64, v8, v64                                 // 000000005C14: 0A808108
	v_mul_f32_e32 v65, v8, v65                                 // 000000005C18: 0A828308
	v_mul_f32_e32 v66, v8, v66                                 // 000000005C1C: 0A848508
	v_mul_f32_e32 v67, v8, v67                                 // 000000005C20: 0A868708
	v_mul_f32_e32 v68, v9, v68                                 // 000000005C24: 0A888909
	v_mul_f32_e32 v69, v9, v69                                 // 000000005C28: 0A8A8B09
	v_mul_f32_e32 v70, v9, v70                                 // 000000005C2C: 0A8C8D09
	v_mul_f32_e32 v71, v9, v71                                 // 000000005C30: 0A8E8F09
	v_mul_f32_e32 v72, v8, v72                                 // 000000005C34: 0A909108
	v_mul_f32_e32 v73, v8, v73                                 // 000000005C38: 0A929308
	v_mul_f32_e32 v74, v8, v74                                 // 000000005C3C: 0A949508
	v_mul_f32_e32 v75, v8, v75                                 // 000000005C40: 0A969708
	v_mul_f32_e32 v76, v9, v76                                 // 000000005C44: 0A989909
	v_mul_f32_e32 v77, v9, v77                                 // 000000005C48: 0A9A9B09
	v_mul_f32_e32 v78, v9, v78                                 // 000000005C4C: 0A9C9D09
	v_mul_f32_e32 v79, v9, v79                                 // 000000005C50: 0A9E9F09
	v_cmp_u_f32_e64 s[34:35], v64, v64                         // 000000005C54: D0480022 00028140
	v_add3_u32 v50, v64, v53, 1                                // 000000005C5C: D1FF0032 02066B40
	v_cndmask_b32_e64 v54, v50, v52, s[34:35]                  // 000000005C64: D1000036 008A6932
	v_cmp_u_f32_e64 s[34:35], v65, v65                         // 000000005C6C: D0480022 00028341
	v_add3_u32 v50, v65, v53, 1                                // 000000005C74: D1FF0032 02066B41
	v_cndmask_b32_e64 v55, v50, v52, s[34:35]                  // 000000005C7C: D1000037 008A6932
	v_perm_b32 v64, v55, v54, s52                              // 000000005C84: D1ED0040 00D26D37
	v_cmp_u_f32_e64 s[34:35], v66, v66                         // 000000005C8C: D0480022 00028542
	v_add3_u32 v50, v66, v53, 1                                // 000000005C94: D1FF0032 02066B42
	v_cndmask_b32_e64 v54, v50, v52, s[34:35]                  // 000000005C9C: D1000036 008A6932
	v_cmp_u_f32_e64 s[34:35], v67, v67                         // 000000005CA4: D0480022 00028743
	v_add3_u32 v50, v67, v53, 1                                // 000000005CAC: D1FF0032 02066B43
	v_cndmask_b32_e64 v55, v50, v52, s[34:35]                  // 000000005CB4: D1000037 008A6932
	v_perm_b32 v65, v55, v54, s52                              // 000000005CBC: D1ED0041 00D26D37
	v_cmp_u_f32_e64 s[34:35], v68, v68                         // 000000005CC4: D0480022 00028944
	v_add3_u32 v50, v68, v53, 1                                // 000000005CCC: D1FF0032 02066B44
	v_cndmask_b32_e64 v54, v50, v52, s[34:35]                  // 000000005CD4: D1000036 008A6932
	v_cmp_u_f32_e64 s[34:35], v69, v69                         // 000000005CDC: D0480022 00028B45
	v_add3_u32 v50, v69, v53, 1                                // 000000005CE4: D1FF0032 02066B45
	v_cndmask_b32_e64 v55, v50, v52, s[34:35]                  // 000000005CEC: D1000037 008A6932
	v_perm_b32 v66, v55, v54, s52                              // 000000005CF4: D1ED0042 00D26D37
	v_cmp_u_f32_e64 s[34:35], v70, v70                         // 000000005CFC: D0480022 00028D46
	v_add3_u32 v50, v70, v53, 1                                // 000000005D04: D1FF0032 02066B46
	v_cndmask_b32_e64 v54, v50, v52, s[34:35]                  // 000000005D0C: D1000036 008A6932
	v_cmp_u_f32_e64 s[34:35], v71, v71                         // 000000005D14: D0480022 00028F47
	v_add3_u32 v50, v71, v53, 1                                // 000000005D1C: D1FF0032 02066B47
	v_cndmask_b32_e64 v55, v50, v52, s[34:35]                  // 000000005D24: D1000037 008A6932
	v_perm_b32 v67, v55, v54, s52                              // 000000005D2C: D1ED0043 00D26D37
	v_cmp_u_f32_e64 s[34:35], v72, v72                         // 000000005D34: D0480022 00029148
	v_add3_u32 v50, v72, v53, 1                                // 000000005D3C: D1FF0032 02066B48
	v_cndmask_b32_e64 v54, v50, v52, s[34:35]                  // 000000005D44: D1000036 008A6932
	v_cmp_u_f32_e64 s[34:35], v73, v73                         // 000000005D4C: D0480022 00029349
	v_add3_u32 v50, v73, v53, 1                                // 000000005D54: D1FF0032 02066B49
	v_cndmask_b32_e64 v55, v50, v52, s[34:35]                  // 000000005D5C: D1000037 008A6932
	v_perm_b32 v68, v55, v54, s52                              // 000000005D64: D1ED0044 00D26D37
	v_cmp_u_f32_e64 s[34:35], v74, v74                         // 000000005D6C: D0480022 0002954A
	v_add3_u32 v50, v74, v53, 1                                // 000000005D74: D1FF0032 02066B4A
	v_cndmask_b32_e64 v54, v50, v52, s[34:35]                  // 000000005D7C: D1000036 008A6932
	v_cmp_u_f32_e64 s[34:35], v75, v75                         // 000000005D84: D0480022 0002974B
	v_add3_u32 v50, v75, v53, 1                                // 000000005D8C: D1FF0032 02066B4B
	v_cndmask_b32_e64 v55, v50, v52, s[34:35]                  // 000000005D94: D1000037 008A6932
	v_perm_b32 v69, v55, v54, s52                              // 000000005D9C: D1ED0045 00D26D37
	v_cmp_u_f32_e64 s[34:35], v76, v76                         // 000000005DA4: D0480022 0002994C
	v_add3_u32 v50, v76, v53, 1                                // 000000005DAC: D1FF0032 02066B4C
	v_cndmask_b32_e64 v54, v50, v52, s[34:35]                  // 000000005DB4: D1000036 008A6932
	v_cmp_u_f32_e64 s[34:35], v77, v77                         // 000000005DBC: D0480022 00029B4D
	v_add3_u32 v50, v77, v53, 1                                // 000000005DC4: D1FF0032 02066B4D
	v_cndmask_b32_e64 v55, v50, v52, s[34:35]                  // 000000005DCC: D1000037 008A6932
	v_perm_b32 v70, v55, v54, s52                              // 000000005DD4: D1ED0046 00D26D37
	v_cmp_u_f32_e64 s[34:35], v78, v78                         // 000000005DDC: D0480022 00029D4E
	v_add3_u32 v50, v78, v53, 1                                // 000000005DE4: D1FF0032 02066B4E
	v_cndmask_b32_e64 v54, v50, v52, s[34:35]                  // 000000005DEC: D1000036 008A6932
	v_cmp_u_f32_e64 s[34:35], v79, v79                         // 000000005DF4: D0480022 00029F4F
	v_add3_u32 v50, v79, v53, 1                                // 000000005DFC: D1FF0032 02066B4F
	v_cndmask_b32_e64 v55, v50, v52, s[34:35]                  // 000000005E04: D1000037 008A6932
	v_perm_b32 v71, v55, v54, s52                              // 000000005E0C: D1ED0047 00D26D37
	s_addk_i32 s80, 0x80                                       // 000000005E14: B7500080
	s_cmp_lt_i32 s80, s81                                      // 000000005E18: BF045150
	s_cbranch_scc0 label_0ED8                                  // 000000005E1C: BF840210
	s_waitcnt vmcnt(30) lgkmcnt(0)                             // 000000005E20: BF8C407E
	s_barrier                                                  // 000000005E24: BF8A0000
	v_mfma_f32_16x16x16_bf16 v[80:83], a[128:129], v[128:129], 0// 000000005E28: D3E10050 0A030180
	ds_read_b32 v10, v4 offset:25344                           // 000000005E30: D86C6300 0A000004
	ds_read_b32 v11, v4 offset:25376                           // 000000005E38: D86C6320 0B000004
	v_mfma_f32_16x16x16_bf16 v[80:83], a[130:131], v[130:131], v[80:83]// 000000005E40: D3E10050 0D430582
	buffer_load_dwordx4 a[0:3], v18, s[12:15], 0 offen         // 000000005E48: E05C1000 80830012
	v_mfma_f32_16x16x16_bf16 v[80:83], a[132:133], v[132:133], v[80:83]// 000000005E50: D3E10050 0D430984
	ds_read_b32 v12, v4 offset:25408                           // 000000005E58: D86C6340 0C000004
	ds_read_b32 v13, v4 offset:25440                           // 000000005E60: D86C6360 0D000004
	v_mfma_f32_16x16x16_bf16 v[80:83], a[134:135], v[134:135], v[80:83]// 000000005E68: D3E10050 0D430D86
	v_mfma_f32_16x16x16_bf16 v[80:83], a[136:137], v[136:137], v[80:83]// 000000005E70: D3E10050 0D431188
	ds_read_b32 v14, v4 offset:29696                           // 000000005E78: D86C7400 0E000004
	ds_read_b32 v15, v4 offset:29728                           // 000000005E80: D86C7420 0F000004
	v_mfma_f32_16x16x16_bf16 v[80:83], a[138:139], v[138:139], v[80:83]// 000000005E88: D3E10050 0D43158A
	buffer_load_dwordx4 a[4:7], v18, s[12:15], 0 offen offset:1024// 000000005E90: E05C1400 80830412
	v_mfma_f32_16x16x16_bf16 v[80:83], a[140:141], v[140:141], v[80:83]// 000000005E98: D3E10050 0D43198C
	ds_read_b32 v16, v4 offset:29760                           // 000000005EA0: D86C7440 10000004
	ds_read_b32 v17, v4 offset:29792                           // 000000005EA8: D86C7460 11000004
	v_mfma_f32_16x16x16_bf16 v[80:83], a[142:143], v[142:143], v[80:83]// 000000005EB0: D3E10050 0D431D8E
	v_mfma_f32_16x16x16_bf16 v[84:87], a[128:129], v[192:193], 0// 000000005EB8: D3E10054 0A038180
	v_mfma_f32_16x16x16_bf16 v[84:87], a[130:131], v[194:195], v[84:87]// 000000005EC0: D3E10054 0D538582
	buffer_load_dwordx4 a[8:11], v18, s[12:15], 0 offen offset:2048// 000000005EC8: E05C1800 80830812
	v_mfma_f32_16x16x16_bf16 v[84:87], a[132:133], v[196:197], v[84:87]// 000000005ED0: D3E10054 0D538984
	v_mfma_f32_16x16x16_bf16 v[84:87], a[134:135], v[198:199], v[84:87]// 000000005ED8: D3E10054 0D538D86
	v_mfma_f32_16x16x16_bf16 v[84:87], a[136:137], v[200:201], v[84:87]// 000000005EE0: D3E10054 0D539188
	v_mfma_f32_16x16x16_bf16 v[84:87], a[138:139], v[202:203], v[84:87]// 000000005EE8: D3E10054 0D53958A
	buffer_load_dwordx4 a[12:15], v18, s[12:15], 0 offen offset:3072// 000000005EF0: E05C1C00 80830C12
	v_mfma_f32_16x16x16_bf16 v[84:87], a[140:141], v[204:205], v[84:87]// 000000005EF8: D3E10054 0D53998C
	v_mfma_f32_16x16x16_bf16 v[84:87], a[142:143], v[206:207], v[84:87]// 000000005F00: D3E10054 0D539D8E
	s_waitcnt lgkmcnt(0)                                       // 000000005F08: BF8CC07F
	s_mov_b64 exec, s[16:17]                                   // 000000005F0C: BEFE0110
	global_atomic_pk_add_bf16 v34, v10, s[8:9]                 // 000000005F10: DD488000 00080A22
	s_mov_b64 exec, s[38:39]                                   // 000000005F18: BEFE0126
	v_mfma_f32_16x16x16_bf16 v[88:91], a[144:145], v[128:129], 0// 000000005F1C: D3E10058 0A030190
	v_mfma_f32_16x16x16_bf16 v[88:91], a[146:147], v[130:131], v[88:91]// 000000005F24: D3E10058 0D630592
	buffer_load_dwordx4 a[16:19], v19, s[12:15], 0 offen       // 000000005F2C: E05C1000 80831013
	v_mfma_f32_16x16x16_bf16 v[88:91], a[148:149], v[132:133], v[88:91]// 000000005F34: D3E10058 0D630994
	v_mfma_f32_16x16x16_bf16 v[88:91], a[150:151], v[134:135], v[88:91]// 000000005F3C: D3E10058 0D630D96
	v_mfma_f32_16x16x16_bf16 v[88:91], a[152:153], v[136:137], v[88:91]// 000000005F44: D3E10058 0D631198
	v_mfma_f32_16x16x16_bf16 v[88:91], a[154:155], v[138:139], v[88:91]// 000000005F4C: D3E10058 0D63159A
	buffer_load_dwordx4 a[20:23], v19, s[12:15], 0 offen offset:1024// 000000005F54: E05C1400 80831413
	v_mfma_f32_16x16x16_bf16 v[88:91], a[156:157], v[140:141], v[88:91]// 000000005F5C: D3E10058 0D63199C
	v_mfma_f32_16x16x16_bf16 v[88:91], a[158:159], v[142:143], v[88:91]// 000000005F64: D3E10058 0D631D9E
	v_mfma_f32_16x16x16_bf16 v[92:95], a[144:145], v[192:193], 0// 000000005F6C: D3E1005C 0A038190
	v_mfma_f32_16x16x16_bf16 v[92:95], a[146:147], v[194:195], v[92:95]// 000000005F74: D3E1005C 0D738592
	buffer_load_dwordx4 a[24:27], v19, s[12:15], 0 offen offset:2048// 000000005F7C: E05C1800 80831813
	v_mfma_f32_16x16x16_bf16 v[92:95], a[148:149], v[196:197], v[92:95]// 000000005F84: D3E1005C 0D738994
	v_mfma_f32_16x16x16_bf16 v[92:95], a[150:151], v[198:199], v[92:95]// 000000005F8C: D3E1005C 0D738D96
	v_mfma_f32_16x16x16_bf16 v[92:95], a[152:153], v[200:201], v[92:95]// 000000005F94: D3E1005C 0D739198
	v_mfma_f32_16x16x16_bf16 v[92:95], a[154:155], v[202:203], v[92:95]// 000000005F9C: D3E1005C 0D73959A
	buffer_load_dwordx4 a[28:31], v19, s[12:15], 0 offen offset:3072// 000000005FA4: E05C1C00 80831C13
	v_mfma_f32_16x16x16_bf16 v[92:95], a[156:157], v[204:205], v[92:95]// 000000005FAC: D3E1005C 0D73999C
	v_mfma_f32_16x16x16_bf16 v[92:95], a[158:159], v[206:207], v[92:95]// 000000005FB4: D3E1005C 0D739D9E
	s_mov_b64 exec, s[18:19]                                   // 000000005FBC: BEFE0112
	global_atomic_pk_add_bf16 v36, v11, s[8:9]                 // 000000005FC0: DD488000 00080B24
	s_mov_b64 exec, s[38:39]                                   // 000000005FC8: BEFE0126
	s_waitcnt vmcnt(30)                                        // 000000005FCC: BF8C4F7E
	v_mfma_f32_16x16x16_bf16 v[80:83], a[160:161], v[144:145], v[80:83]// 000000005FD0: D3E10050 0D4321A0
	ds_write_b64 v3, v[64:65] offset:16640                     // 000000005FD8: D89A4100 00004003
	v_mfma_f32_16x16x16_bf16 v[80:83], a[162:163], v[146:147], v[80:83]// 000000005FE0: D3E10050 0D4325A2
	buffer_load_dwordx4 a[32:35], v20, s[12:15], 0 offen       // 000000005FE8: E05C1000 80832014
	v_mfma_f32_16x16x16_bf16 v[80:83], a[164:165], v[148:149], v[80:83]// 000000005FF0: D3E10050 0D4329A4
	ds_write_b64 v3, v[66:67] offset:20992                     // 000000005FF8: D89A5200 00004203
	v_mfma_f32_16x16x16_bf16 v[80:83], a[166:167], v[150:151], v[80:83]// 000000006000: D3E10050 0D432DA6
	v_mfma_f32_16x16x16_bf16 v[80:83], a[168:169], v[152:153], v[80:83]// 000000006008: D3E10050 0D4331A8
	ds_write_b64 v3, v[68:69] offset:18816                     // 000000006010: D89A4980 00004403
	v_mfma_f32_16x16x16_bf16 v[80:83], a[170:171], v[154:155], v[80:83]// 000000006018: D3E10050 0D4335AA
	buffer_load_dwordx4 a[36:39], v20, s[12:15], 0 offen offset:1024// 000000006020: E05C1400 80832414
	v_mfma_f32_16x16x16_bf16 v[80:83], a[172:173], v[156:157], v[80:83]// 000000006028: D3E10050 0D4339AC
	ds_write_b64 v3, v[70:71] offset:23168                     // 000000006030: D89A5A80 00004603
	v_mfma_f32_16x16x16_bf16 v[80:83], a[174:175], v[158:159], v[80:83]// 000000006038: D3E10050 0D433DAE
	v_mfma_f32_16x16x16_bf16 v[84:87], a[160:161], v[208:209], v[84:87]// 000000006040: D3E10054 0D53A1A0
	v_mfma_f32_16x16x16_bf16 v[84:87], a[162:163], v[210:211], v[84:87]// 000000006048: D3E10054 0D53A5A2
	buffer_load_dwordx4 a[40:43], v20, s[12:15], 0 offen offset:2048// 000000006050: E05C1800 80832814
	v_mfma_f32_16x16x16_bf16 v[84:87], a[164:165], v[212:213], v[84:87]// 000000006058: D3E10054 0D53A9A4
	v_mfma_f32_16x16x16_bf16 v[84:87], a[166:167], v[214:215], v[84:87]// 000000006060: D3E10054 0D53ADA6
	v_mfma_f32_16x16x16_bf16 v[84:87], a[168:169], v[216:217], v[84:87]// 000000006068: D3E10054 0D53B1A8
	v_mfma_f32_16x16x16_bf16 v[84:87], a[170:171], v[218:219], v[84:87]// 000000006070: D3E10054 0D53B5AA
	buffer_load_dwordx4 a[44:47], v20, s[12:15], 0 offen offset:3072// 000000006078: E05C1C00 80832C14
	v_mfma_f32_16x16x16_bf16 v[84:87], a[172:173], v[220:221], v[84:87]// 000000006080: D3E10054 0D53B9AC
	v_mfma_f32_16x16x16_bf16 v[84:87], a[174:175], v[222:223], v[84:87]// 000000006088: D3E10054 0D53BDAE
	s_mov_b64 exec, s[20:21]                                   // 000000006090: BEFE0114
	global_atomic_pk_add_bf16 v38, v12, s[8:9]                 // 000000006094: DD488000 00080C26
	s_mov_b64 exec, s[38:39]                                   // 00000000609C: BEFE0126
	v_mfma_f32_16x16x16_bf16 v[88:91], a[176:177], v[144:145], v[88:91]// 0000000060A0: D3E10058 0D6321B0
	v_mfma_f32_16x16x16_bf16 v[88:91], a[178:179], v[146:147], v[88:91]// 0000000060A8: D3E10058 0D6325B2
	buffer_load_dwordx4 a[48:51], v21, s[12:15], 0 offen       // 0000000060B0: E05C1000 80833015
	v_mfma_f32_16x16x16_bf16 v[88:91], a[180:181], v[148:149], v[88:91]// 0000000060B8: D3E10058 0D6329B4
	v_mfma_f32_16x16x16_bf16 v[88:91], a[182:183], v[150:151], v[88:91]// 0000000060C0: D3E10058 0D632DB6
	v_mfma_f32_16x16x16_bf16 v[88:91], a[184:185], v[152:153], v[88:91]// 0000000060C8: D3E10058 0D6331B8
	v_mfma_f32_16x16x16_bf16 v[88:91], a[186:187], v[154:155], v[88:91]// 0000000060D0: D3E10058 0D6335BA
	buffer_load_dwordx4 a[52:55], v21, s[12:15], 0 offen offset:1024// 0000000060D8: E05C1400 80833415
	v_mfma_f32_16x16x16_bf16 v[88:91], a[188:189], v[156:157], v[88:91]// 0000000060E0: D3E10058 0D6339BC
	v_mfma_f32_16x16x16_bf16 v[88:91], a[190:191], v[158:159], v[88:91]// 0000000060E8: D3E10058 0D633DBE
	v_mfma_f32_16x16x16_bf16 v[92:95], a[176:177], v[208:209], v[92:95]// 0000000060F0: D3E1005C 0D73A1B0
	v_mfma_f32_16x16x16_bf16 v[92:95], a[178:179], v[210:211], v[92:95]// 0000000060F8: D3E1005C 0D73A5B2
	buffer_load_dwordx4 a[56:59], v21, s[12:15], 0 offen offset:2048// 000000006100: E05C1800 80833815
	v_mfma_f32_16x16x16_bf16 v[92:95], a[180:181], v[212:213], v[92:95]// 000000006108: D3E1005C 0D73A9B4
	v_mfma_f32_16x16x16_bf16 v[92:95], a[182:183], v[214:215], v[92:95]// 000000006110: D3E1005C 0D73ADB6
	v_mfma_f32_16x16x16_bf16 v[92:95], a[184:185], v[216:217], v[92:95]// 000000006118: D3E1005C 0D73B1B8
	v_mfma_f32_16x16x16_bf16 v[92:95], a[186:187], v[218:219], v[92:95]// 000000006120: D3E1005C 0D73B5BA
	buffer_load_dwordx4 a[60:63], v21, s[12:15], 0 offen offset:3072// 000000006128: E05C1C00 80833C15
	v_mfma_f32_16x16x16_bf16 v[92:95], a[188:189], v[220:221], v[92:95]// 000000006130: D3E1005C 0D73B9BC
	v_mfma_f32_16x16x16_bf16 v[92:95], a[190:191], v[222:223], v[92:95]// 000000006138: D3E1005C 0D73BDBE
	s_mov_b64 exec, s[22:23]                                   // 000000006140: BEFE0116
	global_atomic_pk_add_bf16 v40, v13, s[8:9]                 // 000000006144: DD488000 00080D28
	s_mov_b64 exec, s[38:39]                                   // 00000000614C: BEFE0126
	s_waitcnt vmcnt(30)                                        // 000000006150: BF8C4F7E
	v_mfma_f32_16x16x16_bf16 v[80:83], a[192:193], v[160:161], v[80:83]// 000000006154: D3E10050 0D4341C0
	v_mfma_f32_16x16x16_bf16 v[80:83], a[194:195], v[162:163], v[80:83]// 00000000615C: D3E10050 0D4345C2
	buffer_load_dwordx4 a[64:67], v22, s[12:15], 0 offen       // 000000006164: E05C1000 80834016
	v_mfma_f32_16x16x16_bf16 v[80:83], a[196:197], v[164:165], v[80:83]// 00000000616C: D3E10050 0D4349C4
	s_add_u32 s60, 0x100, s80                                  // 000000006174: 803C50FF 00000100
	s_cmp_lt_u32 s60, s81                                      // 00000000617C: BF0A513C
	s_cselect_b32 s56, s56, 0                                  // 000000006180: 85388038
	v_mfma_f32_16x16x16_bf16 v[80:83], a[198:199], v[166:167], v[80:83]// 000000006184: D3E10050 0D434DC6
	v_mfma_f32_16x16x16_bf16 v[80:83], a[200:201], v[168:169], v[80:83]// 00000000618C: D3E10050 0D4351C8
	v_mfma_f32_16x16x16_bf16 v[80:83], a[202:203], v[170:171], v[80:83]// 000000006194: D3E10050 0D4355CA
	buffer_load_dwordx4 a[68:71], v22, s[12:15], 0 offen offset:1024// 00000000619C: E05C1400 80834416
	v_mfma_f32_16x16x16_bf16 v[80:83], a[204:205], v[172:173], v[80:83]// 0000000061A4: D3E10050 0D4359CC
	s_cmp_ge_u32 s80, 0x100                                    // 0000000061AC: BF09FF50 00000100
	s_cselect_b32 s59, 0x100, s59                              // 0000000061B4: 853B3BFF 00000100
	v_mfma_f32_16x16x16_bf16 v[80:83], a[206:207], v[174:175], v[80:83]// 0000000061BC: D3E10050 0D435DCE
	v_mfma_f32_16x16x16_bf16 v[84:87], a[192:193], v[224:225], v[84:87]// 0000000061C4: D3E10054 0D53C1C0
	v_mfma_f32_16x16x16_bf16 v[84:87], a[194:195], v[226:227], v[84:87]// 0000000061CC: D3E10054 0D53C5C2
	buffer_load_dwordx4 a[72:75], v22, s[12:15], 0 offen offset:2048// 0000000061D4: E05C1800 80834816
	v_mfma_f32_16x16x16_bf16 v[84:87], a[196:197], v[228:229], v[84:87]// 0000000061DC: D3E10054 0D53C9C4
	s_add_u32 s16, s57, s16                                    // 0000000061E4: 80101039
	s_addc_u32 s17, 0, s17                                     // 0000000061E8: 82111180
	v_mfma_f32_16x16x16_bf16 v[84:87], a[198:199], v[230:231], v[84:87]// 0000000061EC: D3E10054 0D53CDC6
	v_mfma_f32_16x16x16_bf16 v[84:87], a[200:201], v[232:233], v[84:87]// 0000000061F4: D3E10054 0D53D1C8
	v_mfma_f32_16x16x16_bf16 v[84:87], a[202:203], v[234:235], v[84:87]// 0000000061FC: D3E10054 0D53D5CA
	buffer_load_dwordx4 a[76:79], v22, s[12:15], 0 offen offset:3072// 000000006204: E05C1C00 80834C16
	v_mfma_f32_16x16x16_bf16 v[84:87], a[204:205], v[236:237], v[84:87]// 00000000620C: D3E10054 0D53D9CC
	v_mfma_f32_16x16x16_bf16 v[84:87], a[206:207], v[238:239], v[84:87]// 000000006214: D3E10054 0D53DDCE
	s_mov_b64 exec, s[24:25]                                   // 00000000621C: BEFE0118
	global_atomic_pk_add_bf16 v42, v14, s[8:9]                 // 000000006220: DD488000 00080E2A
	s_mov_b64 exec, s[38:39]                                   // 000000006228: BEFE0126
	v_mfma_f32_16x16x16_bf16 v[88:91], a[208:209], v[160:161], v[88:91]// 00000000622C: D3E10058 0D6341D0
	v_mfma_f32_16x16x16_bf16 v[88:91], a[210:211], v[162:163], v[88:91]// 000000006234: D3E10058 0D6345D2
	buffer_load_dwordx4 a[80:83], v23, s[12:15], 0 offen       // 00000000623C: E05C1000 80835017
	v_mfma_f32_16x16x16_bf16 v[88:91], a[212:213], v[164:165], v[88:91]// 000000006244: D3E10058 0D6349D4
	v_mfma_f32_16x16x16_bf16 v[88:91], a[214:215], v[166:167], v[88:91]// 00000000624C: D3E10058 0D634DD6
	v_mfma_f32_16x16x16_bf16 v[88:91], a[216:217], v[168:169], v[88:91]// 000000006254: D3E10058 0D6351D8
	v_mfma_f32_16x16x16_bf16 v[88:91], a[218:219], v[170:171], v[88:91]// 00000000625C: D3E10058 0D6355DA
	buffer_load_dwordx4 a[84:87], v23, s[12:15], 0 offen offset:1024// 000000006264: E05C1400 80835417
	v_mfma_f32_16x16x16_bf16 v[88:91], a[220:221], v[172:173], v[88:91]// 00000000626C: D3E10058 0D6359DC
	v_mfma_f32_16x16x16_bf16 v[88:91], a[222:223], v[174:175], v[88:91]// 000000006274: D3E10058 0D635DDE
	v_mfma_f32_16x16x16_bf16 v[92:95], a[208:209], v[224:225], v[92:95]// 00000000627C: D3E1005C 0D73C1D0
	v_mfma_f32_16x16x16_bf16 v[92:95], a[210:211], v[226:227], v[92:95]// 000000006284: D3E1005C 0D73C5D2
	buffer_load_dwordx4 a[88:91], v23, s[12:15], 0 offen offset:2048// 00000000628C: E05C1800 80835817
	v_mfma_f32_16x16x16_bf16 v[92:95], a[212:213], v[228:229], v[92:95]// 000000006294: D3E1005C 0D73C9D4
	v_mfma_f32_16x16x16_bf16 v[92:95], a[214:215], v[230:231], v[92:95]// 00000000629C: D3E1005C 0D73CDD6
	v_mfma_f32_16x16x16_bf16 v[92:95], a[216:217], v[232:233], v[92:95]// 0000000062A4: D3E1005C 0D73D1D8
	v_mfma_f32_16x16x16_bf16 v[92:95], a[218:219], v[234:235], v[92:95]// 0000000062AC: D3E1005C 0D73D5DA
	buffer_load_dwordx4 a[92:95], v23, s[12:15], 0 offen offset:3072// 0000000062B4: E05C1C00 80835C17
	v_mfma_f32_16x16x16_bf16 v[92:95], a[220:221], v[236:237], v[92:95]// 0000000062BC: D3E1005C 0D73D9DC
	v_mfma_f32_16x16x16_bf16 v[92:95], a[222:223], v[238:239], v[92:95]// 0000000062C4: D3E1005C 0D73DDDE
	s_mov_b64 exec, s[26:27]                                   // 0000000062CC: BEFE011A
	global_atomic_pk_add_bf16 v44, v15, s[8:9]                 // 0000000062D0: DD488000 00080F2C
	s_mov_b64 exec, s[38:39]                                   // 0000000062D8: BEFE0126
	s_waitcnt vmcnt(30)                                        // 0000000062DC: BF8C4F7E
	v_mfma_f32_16x16x16_bf16 v[80:83], a[224:225], v[176:177], v[80:83]// 0000000062E0: D3E10050 0D4361E0
	v_mfma_f32_16x16x16_bf16 v[80:83], a[226:227], v[178:179], v[80:83]// 0000000062E8: D3E10050 0D4365E2
	buffer_load_dwordx4 a[96:99], v24, s[12:15], 0 offen       // 0000000062F0: E05C1000 80836018
	v_mfma_f32_16x16x16_bf16 v[80:83], a[228:229], v[180:181], v[80:83]// 0000000062F8: D3E10050 0D4369E4
	v_mfma_f32_16x16x16_bf16 v[80:83], a[230:231], v[182:183], v[80:83]// 000000006300: D3E10050 0D436DE6
	v_mfma_f32_16x16x16_bf16 v[80:83], a[232:233], v[184:185], v[80:83]// 000000006308: D3E10050 0D4371E8
	v_mfma_f32_16x16x16_bf16 v[80:83], a[234:235], v[186:187], v[80:83]// 000000006310: D3E10050 0D4375EA
	buffer_load_dwordx4 a[100:103], v24, s[12:15], 0 offen offset:1024// 000000006318: E05C1400 80836418
	v_mfma_f32_16x16x16_bf16 v[80:83], a[236:237], v[188:189], v[80:83]// 000000006320: D3E10050 0D4379EC
	v_mfma_f32_16x16x16_bf16 v[80:83], a[238:239], v[190:191], v[80:83]// 000000006328: D3E10050 0D437DEE
	v_mfma_f32_16x16x16_bf16 v[84:87], a[224:225], v[240:241], v[84:87]// 000000006330: D3E10054 0D53E1E0
	v_mfma_f32_16x16x16_bf16 v[84:87], a[226:227], v[242:243], v[84:87]// 000000006338: D3E10054 0D53E5E2
	buffer_load_dwordx4 a[104:107], v24, s[12:15], 0 offen offset:2048// 000000006340: E05C1800 80836818
	v_mfma_f32_16x16x16_bf16 v[84:87], a[228:229], v[244:245], v[84:87]// 000000006348: D3E10054 0D53E9E4
	v_mfma_f32_16x16x16_bf16 v[84:87], a[230:231], v[246:247], v[84:87]// 000000006350: D3E10054 0D53EDE6
	v_mfma_f32_16x16x16_bf16 v[84:87], a[232:233], v[248:249], v[84:87]// 000000006358: D3E10054 0D53F1E8
	v_mfma_f32_16x16x16_bf16 v[84:87], a[234:235], v[250:251], v[84:87]// 000000006360: D3E10054 0D53F5EA
	buffer_load_dwordx4 a[108:111], v24, s[12:15], 0 offen offset:3072// 000000006368: E05C1C00 80836C18
	v_mfma_f32_16x16x16_bf16 v[84:87], a[236:237], v[252:253], v[84:87]// 000000006370: D3E10054 0D53F9EC
	v_mfma_f32_16x16x16_bf16 v[84:87], a[238:239], v[254:255], v[84:87]// 000000006378: D3E10054 0D53FDEE
	s_mov_b64 exec, s[28:29]                                   // 000000006380: BEFE011C
	global_atomic_pk_add_bf16 v46, v16, s[8:9]                 // 000000006384: DD488000 0008102E
	s_mov_b64 exec, s[38:39]                                   // 00000000638C: BEFE0126
	v_mfma_f32_16x16x16_bf16 v[88:91], a[240:241], v[176:177], v[88:91]// 000000006390: D3E10058 0D6361F0
	v_mfma_f32_16x16x16_bf16 v[88:91], a[242:243], v[178:179], v[88:91]// 000000006398: D3E10058 0D6365F2
	buffer_load_dwordx4 a[112:115], v25, s[12:15], 0 offen     // 0000000063A0: E05C1000 80837019
	v_mfma_f32_16x16x16_bf16 v[88:91], a[244:245], v[180:181], v[88:91]// 0000000063A8: D3E10058 0D6369F4
	v_mfma_f32_16x16x16_bf16 v[88:91], a[246:247], v[182:183], v[88:91]// 0000000063B0: D3E10058 0D636DF6
	v_mfma_f32_16x16x16_bf16 v[88:91], a[248:249], v[184:185], v[88:91]// 0000000063B8: D3E10058 0D6371F8
	v_mfma_f32_16x16x16_bf16 v[88:91], a[250:251], v[186:187], v[88:91]// 0000000063C0: D3E10058 0D6375FA
	buffer_load_dwordx4 a[116:119], v25, s[12:15], 0 offen offset:1024// 0000000063C8: E05C1400 80837419
	v_mfma_f32_16x16x16_bf16 v[88:91], a[252:253], v[188:189], v[88:91]// 0000000063D0: D3E10058 0D6379FC
	v_mfma_f32_16x16x16_bf16 v[88:91], a[254:255], v[190:191], v[88:91]// 0000000063D8: D3E10058 0D637DFE
	v_mfma_f32_16x16x16_bf16 v[92:95], a[240:241], v[240:241], v[92:95]// 0000000063E0: D3E1005C 0D73E1F0
	v_mfma_f32_16x16x16_bf16 v[92:95], a[242:243], v[242:243], v[92:95]// 0000000063E8: D3E1005C 0D73E5F2
	buffer_load_dwordx4 a[120:123], v25, s[12:15], 0 offen offset:2048// 0000000063F0: E05C1800 80837819
	v_mfma_f32_16x16x16_bf16 v[92:95], a[244:245], v[244:245], v[92:95]// 0000000063F8: D3E1005C 0D73E9F4
	v_mfma_f32_16x16x16_bf16 v[92:95], a[246:247], v[246:247], v[92:95]// 000000006400: D3E1005C 0D73EDF6
	v_mfma_f32_16x16x16_bf16 v[92:95], a[248:249], v[248:249], v[92:95]// 000000006408: D3E1005C 0D73F1F8
	v_mfma_f32_16x16x16_bf16 v[92:95], a[250:251], v[250:251], v[92:95]// 000000006410: D3E1005C 0D73F5FA
	buffer_load_dwordx4 a[124:127], v25, s[12:15], 0 offen offset:3072// 000000006418: E05C1C00 80837C19
	v_mfma_f32_16x16x16_bf16 v[92:95], a[252:253], v[252:253], v[92:95]// 000000006420: D3E1005C 0D73F9FC
	s_add_u32 s12, s56, s12                                    // 000000006428: 800C0C38
	s_addc_u32 s13, 0, s13                                     // 00000000642C: 820D0D80
	v_mfma_f32_16x16x16_bf16 v[92:95], a[254:255], v[254:255], v[92:95]// 000000006430: D3E1005C 0D73FDFE
	s_mov_b64 exec, s[30:31]                                   // 000000006438: BEFE011E
	global_atomic_pk_add_bf16 v48, v17, s[8:9]                 // 00000000643C: DD488000 00081130
	s_mov_b64 exec, s[38:39]                                   // 000000006444: BEFE0126
	s_add_u32 s8, s59, s8                                      // 000000006448: 8008083B
	s_addc_u32 s9, 0, s9                                       // 00000000644C: 82090980
	v_mul_f32_e32 v80, v8, v80                                 // 000000006450: 0AA0A108
	v_mul_f32_e32 v81, v8, v81                                 // 000000006454: 0AA2A308
	v_mul_f32_e32 v82, v8, v82                                 // 000000006458: 0AA4A508
	v_mul_f32_e32 v83, v8, v83                                 // 00000000645C: 0AA6A708
	v_mul_f32_e32 v84, v9, v84                                 // 000000006460: 0AA8A909
	v_mul_f32_e32 v85, v9, v85                                 // 000000006464: 0AAAAB09
	v_mul_f32_e32 v86, v9, v86                                 // 000000006468: 0AACAD09
	v_mul_f32_e32 v87, v9, v87                                 // 00000000646C: 0AAEAF09
	v_mul_f32_e32 v88, v8, v88                                 // 000000006470: 0AB0B108
	v_mul_f32_e32 v89, v8, v89                                 // 000000006474: 0AB2B308
	v_mul_f32_e32 v90, v8, v90                                 // 000000006478: 0AB4B508
	v_mul_f32_e32 v91, v8, v91                                 // 00000000647C: 0AB6B708
	v_mul_f32_e32 v92, v9, v92                                 // 000000006480: 0AB8B909
	v_mul_f32_e32 v93, v9, v93                                 // 000000006484: 0ABABB09
	v_mul_f32_e32 v94, v9, v94                                 // 000000006488: 0ABCBD09
	v_mul_f32_e32 v95, v9, v95                                 // 00000000648C: 0ABEBF09
	v_cmp_u_f32_e64 s[34:35], v80, v80                         // 000000006490: D0480022 0002A150
	v_add3_u32 v50, v80, v53, 1                                // 000000006498: D1FF0032 02066B50
	v_cndmask_b32_e64 v54, v50, v52, s[34:35]                  // 0000000064A0: D1000036 008A6932
	v_cmp_u_f32_e64 s[34:35], v81, v81                         // 0000000064A8: D0480022 0002A351
	v_add3_u32 v50, v81, v53, 1                                // 0000000064B0: D1FF0032 02066B51
	v_cndmask_b32_e64 v55, v50, v52, s[34:35]                  // 0000000064B8: D1000037 008A6932
	v_perm_b32 v80, v55, v54, s52                              // 0000000064C0: D1ED0050 00D26D37
	v_cmp_u_f32_e64 s[34:35], v82, v82                         // 0000000064C8: D0480022 0002A552
	v_add3_u32 v50, v82, v53, 1                                // 0000000064D0: D1FF0032 02066B52
	v_cndmask_b32_e64 v54, v50, v52, s[34:35]                  // 0000000064D8: D1000036 008A6932
	v_cmp_u_f32_e64 s[34:35], v83, v83                         // 0000000064E0: D0480022 0002A753
	v_add3_u32 v50, v83, v53, 1                                // 0000000064E8: D1FF0032 02066B53
	v_cndmask_b32_e64 v55, v50, v52, s[34:35]                  // 0000000064F0: D1000037 008A6932
	v_perm_b32 v81, v55, v54, s52                              // 0000000064F8: D1ED0051 00D26D37
	v_cmp_u_f32_e64 s[34:35], v84, v84                         // 000000006500: D0480022 0002A954
	v_add3_u32 v50, v84, v53, 1                                // 000000006508: D1FF0032 02066B54
	v_cndmask_b32_e64 v54, v50, v52, s[34:35]                  // 000000006510: D1000036 008A6932
	v_cmp_u_f32_e64 s[34:35], v85, v85                         // 000000006518: D0480022 0002AB55
	v_add3_u32 v50, v85, v53, 1                                // 000000006520: D1FF0032 02066B55
	v_cndmask_b32_e64 v55, v50, v52, s[34:35]                  // 000000006528: D1000037 008A6932
	v_perm_b32 v82, v55, v54, s52                              // 000000006530: D1ED0052 00D26D37
	v_cmp_u_f32_e64 s[34:35], v86, v86                         // 000000006538: D0480022 0002AD56
	v_add3_u32 v50, v86, v53, 1                                // 000000006540: D1FF0032 02066B56
	v_cndmask_b32_e64 v54, v50, v52, s[34:35]                  // 000000006548: D1000036 008A6932
	v_cmp_u_f32_e64 s[34:35], v87, v87                         // 000000006550: D0480022 0002AF57
	v_add3_u32 v50, v87, v53, 1                                // 000000006558: D1FF0032 02066B57
	v_cndmask_b32_e64 v55, v50, v52, s[34:35]                  // 000000006560: D1000037 008A6932
	v_perm_b32 v83, v55, v54, s52                              // 000000006568: D1ED0053 00D26D37
	v_cmp_u_f32_e64 s[34:35], v88, v88                         // 000000006570: D0480022 0002B158
	v_add3_u32 v50, v88, v53, 1                                // 000000006578: D1FF0032 02066B58
	v_cndmask_b32_e64 v54, v50, v52, s[34:35]                  // 000000006580: D1000036 008A6932
	v_cmp_u_f32_e64 s[34:35], v89, v89                         // 000000006588: D0480022 0002B359
	v_add3_u32 v50, v89, v53, 1                                // 000000006590: D1FF0032 02066B59
	v_cndmask_b32_e64 v55, v50, v52, s[34:35]                  // 000000006598: D1000037 008A6932
	v_perm_b32 v84, v55, v54, s52                              // 0000000065A0: D1ED0054 00D26D37
	v_cmp_u_f32_e64 s[34:35], v90, v90                         // 0000000065A8: D0480022 0002B55A
	v_add3_u32 v50, v90, v53, 1                                // 0000000065B0: D1FF0032 02066B5A
	v_cndmask_b32_e64 v54, v50, v52, s[34:35]                  // 0000000065B8: D1000036 008A6932
	v_cmp_u_f32_e64 s[34:35], v91, v91                         // 0000000065C0: D0480022 0002B75B
	v_add3_u32 v50, v91, v53, 1                                // 0000000065C8: D1FF0032 02066B5B
	v_cndmask_b32_e64 v55, v50, v52, s[34:35]                  // 0000000065D0: D1000037 008A6932
	v_perm_b32 v85, v55, v54, s52                              // 0000000065D8: D1ED0055 00D26D37
	v_cmp_u_f32_e64 s[34:35], v92, v92                         // 0000000065E0: D0480022 0002B95C
	v_add3_u32 v50, v92, v53, 1                                // 0000000065E8: D1FF0032 02066B5C
	v_cndmask_b32_e64 v54, v50, v52, s[34:35]                  // 0000000065F0: D1000036 008A6932
	v_cmp_u_f32_e64 s[34:35], v93, v93                         // 0000000065F8: D0480022 0002BB5D
	v_add3_u32 v50, v93, v53, 1                                // 000000006600: D1FF0032 02066B5D
	v_cndmask_b32_e64 v55, v50, v52, s[34:35]                  // 000000006608: D1000037 008A6932
	v_perm_b32 v86, v55, v54, s52                              // 000000006610: D1ED0056 00D26D37
	v_cmp_u_f32_e64 s[34:35], v94, v94                         // 000000006618: D0480022 0002BD5E
	v_add3_u32 v50, v94, v53, 1                                // 000000006620: D1FF0032 02066B5E
	v_cndmask_b32_e64 v54, v50, v52, s[34:35]                  // 000000006628: D1000036 008A6932
	v_cmp_u_f32_e64 s[34:35], v95, v95                         // 000000006630: D0480022 0002BF5F
	v_add3_u32 v50, v95, v53, 1                                // 000000006638: D1FF0032 02066B5F
	v_cndmask_b32_e64 v55, v50, v52, s[34:35]                  // 000000006640: D1000037 008A6932
	v_perm_b32 v87, v55, v54, s52                              // 000000006648: D1ED0057 00D26D37
	s_addk_i32 s80, 0x80                                       // 000000006650: B7500080
	s_cmp_lt_i32 s80, s81                                      // 000000006654: BF045150
	s_cbranch_scc0 label_0ED8                                  // 000000006658: BF840001
	s_branch label_0AB9                                        // 00000000665C: BF82FBE1

0000000000006660 <label_0ED8>:
	s_nop 0                                                    // 000000006660: BF800000
	s_nop 0                                                    // 000000006664: BF800000
	s_branch label_1BA1                                        // 000000006668: BF820CC6

000000000000666c <label_0EDB>:
	s_waitcnt vmcnt(24) lgkmcnt(0)                             // 00000000666C: BF8C4078
	s_barrier                                                  // 000000006670: BF8A0000
	v_mfma_f32_16x16x16_bf16 v[128:131], a[0:1], v[64:65], v[128:131]// 000000006674: D3E10080 0E028100
	buffer_load_dwordx4 a[128:131], v26, s[20:23], 0 offen     // 00000000667C: E05C1000 8085801A
	v_mfma_f32_16x16x16_bf16 v[128:131], a[2:3], v[66:67], v[128:131]// 000000006684: D3E10080 0E028502
	v_mfma_f32_16x16x16_bf16 v[128:131], a[4:5], v[68:69], v[128:131]// 00000000668C: D3E10080 0E028904
	buffer_load_dword v10, s[16:19], 0 offen lds               // 000000006694: E0511000 8004000A
	s_add_u32 m0, 0x100, s36                                   // 00000000669C: 807C24FF 00000100
	v_mfma_f32_16x16x16_bf16 v[128:131], a[6:7], v[70:71], v[128:131]// 0000000066A4: D3E10080 0E028D06
	v_mfma_f32_16x16x16_bf16 v[128:131], a[8:9], v[72:73], v[128:131]// 0000000066AC: D3E10080 0E029108
	buffer_load_dwordx4 a[132:135], v26, s[20:23], 0 offen offset:1024// 0000000066B4: E05C1400 8085841A
	v_mfma_f32_16x16x16_bf16 v[128:131], a[10:11], v[74:75], v[128:131]// 0000000066BC: D3E10080 0E02950A
	v_mfma_f32_16x16x16_bf16 v[128:131], a[12:13], v[76:77], v[128:131]// 0000000066C4: D3E10080 0E02990C
	buffer_load_dword v11, s[16:19], 0 offen lds               // 0000000066CC: E0511000 8004000B
	s_add_u32 m0, 0x200, s36                                   // 0000000066D4: 807C24FF 00000200
	v_mfma_f32_16x16x16_bf16 v[128:131], a[14:15], v[78:79], v[128:131]// 0000000066DC: D3E10080 0E029D0E
	v_mfma_f32_16x16x16_bf16 v[132:135], a[0:1], v[80:81], v[132:135]// 0000000066E4: D3E10084 0E12A100
	buffer_load_dwordx4 a[136:139], v26, s[20:23], 0 offen offset:2048// 0000000066EC: E05C1800 8085881A
	v_mfma_f32_16x16x16_bf16 v[132:135], a[2:3], v[82:83], v[132:135]// 0000000066F4: D3E10084 0E12A502
	v_mfma_f32_16x16x16_bf16 v[132:135], a[4:5], v[84:85], v[132:135]// 0000000066FC: D3E10084 0E12A904
	buffer_load_dword v12, s[16:19], 0 offen lds               // 000000006704: E0511000 8004000C
	s_add_u32 m0, 0x300, s36                                   // 00000000670C: 807C24FF 00000300
	v_mfma_f32_16x16x16_bf16 v[132:135], a[6:7], v[86:87], v[132:135]// 000000006714: D3E10084 0E12AD06
	v_mfma_f32_16x16x16_bf16 v[132:135], a[8:9], v[88:89], v[132:135]// 00000000671C: D3E10084 0E12B108
	buffer_load_dwordx4 a[140:143], v26, s[20:23], 0 offen offset:3072// 000000006724: E05C1C00 80858C1A
	v_mfma_f32_16x16x16_bf16 v[132:135], a[10:11], v[90:91], v[132:135]// 00000000672C: D3E10084 0E12B50A
	v_mfma_f32_16x16x16_bf16 v[132:135], a[12:13], v[92:93], v[132:135]// 000000006734: D3E10084 0E12B90C
	buffer_load_dword v13, s[16:19], 0 offen lds               // 00000000673C: E0511000 8004000D
	s_add_u32 m0, 0x400, s36                                   // 000000006744: 807C24FF 00000400
	v_mfma_f32_16x16x16_bf16 v[132:135], a[14:15], v[94:95], v[132:135]// 00000000674C: D3E10084 0E12BD0E
	v_mfma_f32_16x16x16_bf16 v[136:139], a[16:17], v[64:65], v[136:139]// 000000006754: D3E10088 0E228110
	buffer_load_dwordx4 a[144:147], v27, s[20:23], 0 offen     // 00000000675C: E05C1000 8085901B
	v_mfma_f32_16x16x16_bf16 v[136:139], a[18:19], v[66:67], v[136:139]// 000000006764: D3E10088 0E228512
	v_mfma_f32_16x16x16_bf16 v[136:139], a[20:21], v[68:69], v[136:139]// 00000000676C: D3E10088 0E228914
	buffer_load_dword v14, s[16:19], 0 offen lds               // 000000006774: E0511000 8004000E
	s_add_u32 m0, 0x500, s36                                   // 00000000677C: 807C24FF 00000500
	v_mfma_f32_16x16x16_bf16 v[136:139], a[22:23], v[70:71], v[136:139]// 000000006784: D3E10088 0E228D16
	v_mfma_f32_16x16x16_bf16 v[136:139], a[24:25], v[72:73], v[136:139]// 00000000678C: D3E10088 0E229118
	buffer_load_dwordx4 a[148:151], v27, s[20:23], 0 offen offset:1024// 000000006794: E05C1400 8085941B
	v_mfma_f32_16x16x16_bf16 v[136:139], a[26:27], v[74:75], v[136:139]// 00000000679C: D3E10088 0E22951A
	v_mfma_f32_16x16x16_bf16 v[136:139], a[28:29], v[76:77], v[136:139]// 0000000067A4: D3E10088 0E22991C
	buffer_load_dword v15, s[16:19], 0 offen lds               // 0000000067AC: E0511000 8004000F
	s_add_u32 m0, 0x600, s36                                   // 0000000067B4: 807C24FF 00000600
	v_mfma_f32_16x16x16_bf16 v[136:139], a[30:31], v[78:79], v[136:139]// 0000000067BC: D3E10088 0E229D1E
	v_mfma_f32_16x16x16_bf16 v[140:143], a[16:17], v[80:81], v[140:143]// 0000000067C4: D3E1008C 0E32A110
	buffer_load_dwordx4 a[152:155], v27, s[20:23], 0 offen offset:2048// 0000000067CC: E05C1800 8085981B
	v_mfma_f32_16x16x16_bf16 v[140:143], a[18:19], v[82:83], v[140:143]// 0000000067D4: D3E1008C 0E32A512
	v_mfma_f32_16x16x16_bf16 v[140:143], a[20:21], v[84:85], v[140:143]// 0000000067DC: D3E1008C 0E32A914
	buffer_load_dword v16, s[16:19], 0 offen lds               // 0000000067E4: E0511000 80040010
	s_add_u32 m0, 0x700, s36                                   // 0000000067EC: 807C24FF 00000700
	v_mfma_f32_16x16x16_bf16 v[140:143], a[22:23], v[86:87], v[140:143]// 0000000067F4: D3E1008C 0E32AD16
	v_mfma_f32_16x16x16_bf16 v[140:143], a[24:25], v[88:89], v[140:143]// 0000000067FC: D3E1008C 0E32B118
	buffer_load_dwordx4 a[156:159], v27, s[20:23], 0 offen offset:3072// 000000006804: E05C1C00 80859C1B
	v_mfma_f32_16x16x16_bf16 v[140:143], a[26:27], v[90:91], v[140:143]// 00000000680C: D3E1008C 0E32B51A
	v_mfma_f32_16x16x16_bf16 v[140:143], a[28:29], v[92:93], v[140:143]// 000000006814: D3E1008C 0E32B91C
	buffer_load_dword v17, s[16:19], 0 offen lds               // 00000000681C: E0511000 80040011
	s_add_u32 m0, 0, s37                                       // 000000006824: 807C2580
	v_mfma_f32_16x16x16_bf16 v[140:143], a[30:31], v[94:95], v[140:143]// 000000006828: D3E1008C 0E32BD1E
	s_waitcnt vmcnt(32)                                        // 000000006830: BF8C8F70
	v_mfma_f32_16x16x16_bf16 v[144:147], a[32:33], v[64:65], v[144:147]// 000000006834: D3E10090 0E428120
	buffer_load_dwordx4 a[160:163], v28, s[20:23], 0 offen     // 00000000683C: E05C1000 8085A01C
	v_mfma_f32_16x16x16_bf16 v[144:147], a[34:35], v[66:67], v[144:147]// 000000006844: D3E10090 0E428522
	v_mfma_f32_16x16x16_bf16 v[144:147], a[36:37], v[68:69], v[144:147]// 00000000684C: D3E10090 0E428924
	ds_read_b128 v[96:99], v2 offset:8320                      // 000000006854: D9FE2080 60000002
	v_mfma_f32_16x16x16_bf16 v[144:147], a[38:39], v[70:71], v[144:147]// 00000000685C: D3E10090 0E428D26
	v_mfma_f32_16x16x16_bf16 v[144:147], a[40:41], v[72:73], v[144:147]// 000000006864: D3E10090 0E429128
	buffer_load_dwordx4 a[164:167], v28, s[20:23], 0 offen offset:1024// 00000000686C: E05C1400 8085A41C
	v_mfma_f32_16x16x16_bf16 v[144:147], a[42:43], v[74:75], v[144:147]// 000000006874: D3E10090 0E42952A
	v_mfma_f32_16x16x16_bf16 v[144:147], a[44:45], v[76:77], v[144:147]// 00000000687C: D3E10090 0E42992C
	ds_read_b128 v[100:103], v2 offset:8384                    // 000000006884: D9FE20C0 64000002
	v_mfma_f32_16x16x16_bf16 v[144:147], a[46:47], v[78:79], v[144:147]// 00000000688C: D3E10090 0E429D2E
	v_mfma_f32_16x16x16_bf16 v[148:151], a[32:33], v[80:81], v[148:151]// 000000006894: D3E10094 0E52A120
	buffer_load_dwordx4 a[168:171], v28, s[20:23], 0 offen offset:2048// 00000000689C: E05C1800 8085A81C
	v_mfma_f32_16x16x16_bf16 v[148:151], a[34:35], v[82:83], v[148:151]// 0000000068A4: D3E10094 0E52A522
	v_mfma_f32_16x16x16_bf16 v[148:151], a[36:37], v[84:85], v[148:151]// 0000000068AC: D3E10094 0E52A924
	ds_read_b128 v[104:107], v2 offset:8448                    // 0000000068B4: D9FE2100 68000002
	v_mfma_f32_16x16x16_bf16 v[148:151], a[38:39], v[86:87], v[148:151]// 0000000068BC: D3E10094 0E52AD26
	v_mfma_f32_16x16x16_bf16 v[148:151], a[40:41], v[88:89], v[148:151]// 0000000068C4: D3E10094 0E52B128
	buffer_load_dwordx4 a[172:175], v28, s[20:23], 0 offen offset:3072// 0000000068CC: E05C1C00 8085AC1C
	v_mfma_f32_16x16x16_bf16 v[148:151], a[42:43], v[90:91], v[148:151]// 0000000068D4: D3E10094 0E52B52A
	v_mfma_f32_16x16x16_bf16 v[148:151], a[44:45], v[92:93], v[148:151]// 0000000068DC: D3E10094 0E52B92C
	ds_read_b128 v[108:111], v2 offset:8512                    // 0000000068E4: D9FE2140 6C000002
	v_mfma_f32_16x16x16_bf16 v[148:151], a[46:47], v[94:95], v[148:151]// 0000000068EC: D3E10094 0E52BD2E
	v_mfma_f32_16x16x16_bf16 v[152:155], a[48:49], v[64:65], v[152:155]// 0000000068F4: D3E10098 0E628130
	buffer_load_dwordx4 a[176:179], v29, s[20:23], 0 offen     // 0000000068FC: E05C1000 8085B01D
	v_mfma_f32_16x16x16_bf16 v[152:155], a[50:51], v[66:67], v[152:155]// 000000006904: D3E10098 0E628532
	v_mfma_f32_16x16x16_bf16 v[152:155], a[52:53], v[68:69], v[152:155]// 00000000690C: D3E10098 0E628934
	ds_read_b128 v[112:115], v2 offset:9344                    // 000000006914: D9FE2480 70000002
	v_mfma_f32_16x16x16_bf16 v[152:155], a[54:55], v[70:71], v[152:155]// 00000000691C: D3E10098 0E628D36
	v_mfma_f32_16x16x16_bf16 v[152:155], a[56:57], v[72:73], v[152:155]// 000000006924: D3E10098 0E629138
	buffer_load_dwordx4 a[180:183], v29, s[20:23], 0 offen offset:1024// 00000000692C: E05C1400 8085B41D
	v_mfma_f32_16x16x16_bf16 v[152:155], a[58:59], v[74:75], v[152:155]// 000000006934: D3E10098 0E62953A
	v_mfma_f32_16x16x16_bf16 v[152:155], a[60:61], v[76:77], v[152:155]// 00000000693C: D3E10098 0E62993C
	ds_read_b128 v[116:119], v2 offset:9408                    // 000000006944: D9FE24C0 74000002
	v_mfma_f32_16x16x16_bf16 v[152:155], a[62:63], v[78:79], v[152:155]// 00000000694C: D3E10098 0E629D3E
	v_mfma_f32_16x16x16_bf16 v[156:159], a[48:49], v[80:81], v[156:159]// 000000006954: D3E1009C 0E72A130
	buffer_load_dwordx4 a[184:187], v29, s[20:23], 0 offen offset:2048// 00000000695C: E05C1800 8085B81D
	v_mfma_f32_16x16x16_bf16 v[156:159], a[50:51], v[82:83], v[156:159]// 000000006964: D3E1009C 0E72A532
	v_mfma_f32_16x16x16_bf16 v[156:159], a[52:53], v[84:85], v[156:159]// 00000000696C: D3E1009C 0E72A934
	ds_read_b128 v[120:123], v2 offset:9472                    // 000000006974: D9FE2500 78000002
	v_mfma_f32_16x16x16_bf16 v[156:159], a[54:55], v[86:87], v[156:159]// 00000000697C: D3E1009C 0E72AD36
	v_mfma_f32_16x16x16_bf16 v[156:159], a[56:57], v[88:89], v[156:159]// 000000006984: D3E1009C 0E72B138
	buffer_load_dwordx4 a[188:191], v29, s[20:23], 0 offen offset:3072// 00000000698C: E05C1C00 8085BC1D
	v_mfma_f32_16x16x16_bf16 v[156:159], a[58:59], v[90:91], v[156:159]// 000000006994: D3E1009C 0E72B53A
	v_mfma_f32_16x16x16_bf16 v[156:159], a[60:61], v[92:93], v[156:159]// 00000000699C: D3E1009C 0E72B93C
	ds_read_b128 v[124:127], v2 offset:9536                    // 0000000069A4: D9FE2540 7C000002
	v_mfma_f32_16x16x16_bf16 v[156:159], a[62:63], v[94:95], v[156:159]// 0000000069AC: D3E1009C 0E72BD3E
	s_waitcnt vmcnt(32)                                        // 0000000069B4: BF8C8F70
	v_mfma_f32_16x16x16_bf16 v[160:163], a[64:65], v[64:65], v[160:163]// 0000000069B8: D3E100A0 0E828140
	buffer_load_dwordx4 a[192:195], v30, s[20:23], 0 offen     // 0000000069C0: E05C1000 8085C01E
	v_mfma_f32_16x16x16_bf16 v[160:163], a[66:67], v[66:67], v[160:163]// 0000000069C8: D3E100A0 0E828542
	v_mfma_f32_16x16x16_bf16 v[160:163], a[68:69], v[68:69], v[160:163]// 0000000069D0: D3E100A0 0E828944
	s_add_u32 s60, 0x180, s80                                  // 0000000069D8: 803C50FF 00000180
	s_cmp_lt_u32 s60, s81                                      // 0000000069E0: BF0A513C
	s_cselect_b32 s57, s57, 0                                  // 0000000069E4: 85398039
	v_mfma_f32_16x16x16_bf16 v[160:163], a[70:71], v[70:71], v[160:163]// 0000000069E8: D3E100A0 0E828D46
	v_mfma_f32_16x16x16_bf16 v[160:163], a[72:73], v[72:73], v[160:163]// 0000000069F0: D3E100A0 0E829148
	buffer_load_dwordx4 a[196:199], v30, s[20:23], 0 offen offset:1024// 0000000069F8: E05C1400 8085C41E
	v_mfma_f32_16x16x16_bf16 v[160:163], a[74:75], v[74:75], v[160:163]// 000000006A00: D3E100A0 0E82954A
	v_mfma_f32_16x16x16_bf16 v[160:163], a[76:77], v[76:77], v[160:163]// 000000006A08: D3E100A0 0E82994C
	s_add_u32 s60, 0x100, s80                                  // 000000006A10: 803C50FF 00000100
	s_cmp_lt_u32 s60, s81                                      // 000000006A18: BF0A513C
	s_cselect_b32 s58, s58, 0                                  // 000000006A1C: 853A803A
	v_mfma_f32_16x16x16_bf16 v[160:163], a[78:79], v[78:79], v[160:163]// 000000006A20: D3E100A0 0E829D4E
	v_mfma_f32_16x16x16_bf16 v[164:167], a[64:65], v[80:81], v[164:167]// 000000006A28: D3E100A4 0E92A140
	buffer_load_dwordx4 a[200:203], v30, s[20:23], 0 offen offset:2048// 000000006A30: E05C1800 8085C81E
	v_mfma_f32_16x16x16_bf16 v[164:167], a[66:67], v[82:83], v[164:167]// 000000006A38: D3E100A4 0E92A542
	v_mfma_f32_16x16x16_bf16 v[164:167], a[68:69], v[84:85], v[164:167]// 000000006A40: D3E100A4 0E92A944
	s_add_u32 s16, s57, s16                                    // 000000006A48: 80101039
	s_addc_u32 s17, 0, s17                                     // 000000006A4C: 82111180
	v_mfma_f32_16x16x16_bf16 v[164:167], a[70:71], v[86:87], v[164:167]// 000000006A50: D3E100A4 0E92AD46
	v_mfma_f32_16x16x16_bf16 v[164:167], a[72:73], v[88:89], v[164:167]// 000000006A58: D3E100A4 0E92B148
	buffer_load_dwordx4 a[204:207], v30, s[20:23], 0 offen offset:3072// 000000006A60: E05C1C00 8085CC1E
	v_mfma_f32_16x16x16_bf16 v[164:167], a[74:75], v[90:91], v[164:167]// 000000006A68: D3E100A4 0E92B54A
	v_mfma_f32_16x16x16_bf16 v[164:167], a[76:77], v[92:93], v[164:167]// 000000006A70: D3E100A4 0E92B94C
	v_mfma_f32_16x16x16_bf16 v[164:167], a[78:79], v[94:95], v[164:167]// 000000006A78: D3E100A4 0E92BD4E
	v_mfma_f32_16x16x16_bf16 v[168:171], a[80:81], v[64:65], v[168:171]// 000000006A80: D3E100A8 0EA28150
	buffer_load_dwordx4 a[208:211], v31, s[20:23], 0 offen     // 000000006A88: E05C1000 8085D01F
	v_mfma_f32_16x16x16_bf16 v[168:171], a[82:83], v[66:67], v[168:171]// 000000006A90: D3E100A8 0EA28552
	v_mfma_f32_16x16x16_bf16 v[168:171], a[84:85], v[68:69], v[168:171]// 000000006A98: D3E100A8 0EA28954
	v_mfma_f32_16x16x16_bf16 v[168:171], a[86:87], v[70:71], v[168:171]// 000000006AA0: D3E100A8 0EA28D56
	v_mfma_f32_16x16x16_bf16 v[168:171], a[88:89], v[72:73], v[168:171]// 000000006AA8: D3E100A8 0EA29158
	buffer_load_dwordx4 a[212:215], v31, s[20:23], 0 offen offset:1024// 000000006AB0: E05C1400 8085D41F
	v_mfma_f32_16x16x16_bf16 v[168:171], a[90:91], v[74:75], v[168:171]// 000000006AB8: D3E100A8 0EA2955A
	v_mfma_f32_16x16x16_bf16 v[168:171], a[92:93], v[76:77], v[168:171]// 000000006AC0: D3E100A8 0EA2995C
	v_mfma_f32_16x16x16_bf16 v[168:171], a[94:95], v[78:79], v[168:171]// 000000006AC8: D3E100A8 0EA29D5E
	v_mfma_f32_16x16x16_bf16 v[172:175], a[80:81], v[80:81], v[172:175]// 000000006AD0: D3E100AC 0EB2A150
	buffer_load_dwordx4 a[216:219], v31, s[20:23], 0 offen offset:2048// 000000006AD8: E05C1800 8085D81F
	v_mfma_f32_16x16x16_bf16 v[172:175], a[82:83], v[82:83], v[172:175]// 000000006AE0: D3E100AC 0EB2A552
	v_mfma_f32_16x16x16_bf16 v[172:175], a[84:85], v[84:85], v[172:175]// 000000006AE8: D3E100AC 0EB2A954
	v_mfma_f32_16x16x16_bf16 v[172:175], a[86:87], v[86:87], v[172:175]// 000000006AF0: D3E100AC 0EB2AD56
	v_mfma_f32_16x16x16_bf16 v[172:175], a[88:89], v[88:89], v[172:175]// 000000006AF8: D3E100AC 0EB2B158
	buffer_load_dwordx4 a[220:223], v31, s[20:23], 0 offen offset:3072// 000000006B00: E05C1C00 8085DC1F
	v_mfma_f32_16x16x16_bf16 v[172:175], a[90:91], v[90:91], v[172:175]// 000000006B08: D3E100AC 0EB2B55A
	v_mfma_f32_16x16x16_bf16 v[172:175], a[92:93], v[92:93], v[172:175]// 000000006B10: D3E100AC 0EB2B95C
	v_mfma_f32_16x16x16_bf16 v[172:175], a[94:95], v[94:95], v[172:175]// 000000006B18: D3E100AC 0EB2BD5E
	s_waitcnt vmcnt(32)                                        // 000000006B20: BF8C8F70
	v_mfma_f32_16x16x16_bf16 v[176:179], a[96:97], v[64:65], v[176:179]// 000000006B24: D3E100B0 0EC28160
	buffer_load_dwordx4 a[224:227], v32, s[20:23], 0 offen     // 000000006B2C: E05C1000 8085E020
	v_mfma_f32_16x16x16_bf16 v[176:179], a[98:99], v[66:67], v[176:179]// 000000006B34: D3E100B0 0EC28562
	v_mfma_f32_16x16x16_bf16 v[176:179], a[100:101], v[68:69], v[176:179]// 000000006B3C: D3E100B0 0EC28964
	v_mfma_f32_16x16x16_bf16 v[176:179], a[102:103], v[70:71], v[176:179]// 000000006B44: D3E100B0 0EC28D66
	v_mfma_f32_16x16x16_bf16 v[176:179], a[104:105], v[72:73], v[176:179]// 000000006B4C: D3E100B0 0EC29168
	buffer_load_dwordx4 a[228:231], v32, s[20:23], 0 offen offset:1024// 000000006B54: E05C1400 8085E420
	v_mfma_f32_16x16x16_bf16 v[176:179], a[106:107], v[74:75], v[176:179]// 000000006B5C: D3E100B0 0EC2956A
	v_mfma_f32_16x16x16_bf16 v[176:179], a[108:109], v[76:77], v[176:179]// 000000006B64: D3E100B0 0EC2996C
	v_mfma_f32_16x16x16_bf16 v[176:179], a[110:111], v[78:79], v[176:179]// 000000006B6C: D3E100B0 0EC29D6E
	v_mfma_f32_16x16x16_bf16 v[180:183], a[96:97], v[80:81], v[180:183]// 000000006B74: D3E100B4 0ED2A160
	buffer_load_dwordx4 a[232:235], v32, s[20:23], 0 offen offset:2048// 000000006B7C: E05C1800 8085E820
	v_mfma_f32_16x16x16_bf16 v[180:183], a[98:99], v[82:83], v[180:183]// 000000006B84: D3E100B4 0ED2A562
	v_mfma_f32_16x16x16_bf16 v[180:183], a[100:101], v[84:85], v[180:183]// 000000006B8C: D3E100B4 0ED2A964
	v_mfma_f32_16x16x16_bf16 v[180:183], a[102:103], v[86:87], v[180:183]// 000000006B94: D3E100B4 0ED2AD66
	v_mfma_f32_16x16x16_bf16 v[180:183], a[104:105], v[88:89], v[180:183]// 000000006B9C: D3E100B4 0ED2B168
	buffer_load_dwordx4 a[236:239], v32, s[20:23], 0 offen offset:3072// 000000006BA4: E05C1C00 8085EC20
	v_mfma_f32_16x16x16_bf16 v[180:183], a[106:107], v[90:91], v[180:183]// 000000006BAC: D3E100B4 0ED2B56A
	v_mfma_f32_16x16x16_bf16 v[180:183], a[108:109], v[92:93], v[180:183]// 000000006BB4: D3E100B4 0ED2B96C
	v_mfma_f32_16x16x16_bf16 v[180:183], a[110:111], v[94:95], v[180:183]// 000000006BBC: D3E100B4 0ED2BD6E
	v_mfma_f32_16x16x16_bf16 v[184:187], a[112:113], v[64:65], v[184:187]// 000000006BC4: D3E100B8 0EE28170
	buffer_load_dwordx4 a[240:243], v33, s[20:23], 0 offen     // 000000006BCC: E05C1000 8085F021
	v_mfma_f32_16x16x16_bf16 v[184:187], a[114:115], v[66:67], v[184:187]// 000000006BD4: D3E100B8 0EE28572
	v_mfma_f32_16x16x16_bf16 v[184:187], a[116:117], v[68:69], v[184:187]// 000000006BDC: D3E100B8 0EE28974
	v_mfma_f32_16x16x16_bf16 v[184:187], a[118:119], v[70:71], v[184:187]// 000000006BE4: D3E100B8 0EE28D76
	v_mfma_f32_16x16x16_bf16 v[184:187], a[120:121], v[72:73], v[184:187]// 000000006BEC: D3E100B8 0EE29178
	buffer_load_dwordx4 a[244:247], v33, s[20:23], 0 offen offset:1024// 000000006BF4: E05C1400 8085F421
	v_mfma_f32_16x16x16_bf16 v[184:187], a[122:123], v[74:75], v[184:187]// 000000006BFC: D3E100B8 0EE2957A
	v_mfma_f32_16x16x16_bf16 v[184:187], a[124:125], v[76:77], v[184:187]// 000000006C04: D3E100B8 0EE2997C
	v_mfma_f32_16x16x16_bf16 v[184:187], a[126:127], v[78:79], v[184:187]// 000000006C0C: D3E100B8 0EE29D7E
	v_mfma_f32_16x16x16_bf16 v[188:191], a[112:113], v[80:81], v[188:191]// 000000006C14: D3E100BC 0EF2A170
	buffer_load_dwordx4 a[248:251], v33, s[20:23], 0 offen offset:2048// 000000006C1C: E05C1800 8085F821
	v_mfma_f32_16x16x16_bf16 v[188:191], a[114:115], v[82:83], v[188:191]// 000000006C24: D3E100BC 0EF2A572
	v_mfma_f32_16x16x16_bf16 v[188:191], a[116:117], v[84:85], v[188:191]// 000000006C2C: D3E100BC 0EF2A974
	v_mfma_f32_16x16x16_bf16 v[188:191], a[118:119], v[86:87], v[188:191]// 000000006C34: D3E100BC 0EF2AD76
	v_mfma_f32_16x16x16_bf16 v[188:191], a[120:121], v[88:89], v[188:191]// 000000006C3C: D3E100BC 0EF2B178
	buffer_load_dwordx4 a[252:255], v33, s[20:23], 0 offen offset:3072// 000000006C44: E05C1C00 8085FC21
	v_mfma_f32_16x16x16_bf16 v[188:191], a[122:123], v[90:91], v[188:191]// 000000006C4C: D3E100BC 0EF2B57A
	v_mfma_f32_16x16x16_bf16 v[188:191], a[124:125], v[92:93], v[188:191]// 000000006C54: D3E100BC 0EF2B97C
	s_add_u32 s20, s58, s20                                    // 000000006C5C: 8014143A
	s_addc_u32 s21, 0, s21                                     // 000000006C60: 82151580
	v_mfma_f32_16x16x16_bf16 v[188:191], a[126:127], v[94:95], v[188:191]// 000000006C64: D3E100BC 0EF2BD7E
	s_addk_i32 s80, 0x80                                       // 000000006C6C: B7500080
	s_cmp_lt_i32 s80, s81                                      // 000000006C70: BF045150
	s_cbranch_scc0 label_11E2                                  // 000000006C74: BF840184
	s_waitcnt vmcnt(24) lgkmcnt(0)                             // 000000006C78: BF8C4078
	s_barrier                                                  // 000000006C7C: BF8A0000
	v_mfma_f32_16x16x16_bf16 v[128:131], a[128:129], v[96:97], v[128:131]// 000000006C80: D3E10080 0E02C180
	buffer_load_dwordx4 a[0:3], v26, s[20:23], 0 offen         // 000000006C88: E05C1000 8085001A
	v_mfma_f32_16x16x16_bf16 v[128:131], a[130:131], v[98:99], v[128:131]// 000000006C90: D3E10080 0E02C582
	v_mfma_f32_16x16x16_bf16 v[128:131], a[132:133], v[100:101], v[128:131]// 000000006C98: D3E10080 0E02C984
	buffer_load_dword v10, s[16:19], 0 offen lds               // 000000006CA0: E0511000 8004000A
	s_add_u32 m0, 0x100, s37                                   // 000000006CA8: 807C25FF 00000100
	v_mfma_f32_16x16x16_bf16 v[128:131], a[134:135], v[102:103], v[128:131]// 000000006CB0: D3E10080 0E02CD86
	v_mfma_f32_16x16x16_bf16 v[128:131], a[136:137], v[104:105], v[128:131]// 000000006CB8: D3E10080 0E02D188
	buffer_load_dwordx4 a[4:7], v26, s[20:23], 0 offen offset:1024// 000000006CC0: E05C1400 8085041A
	v_mfma_f32_16x16x16_bf16 v[128:131], a[138:139], v[106:107], v[128:131]// 000000006CC8: D3E10080 0E02D58A
	v_mfma_f32_16x16x16_bf16 v[128:131], a[140:141], v[108:109], v[128:131]// 000000006CD0: D3E10080 0E02D98C
	buffer_load_dword v11, s[16:19], 0 offen lds               // 000000006CD8: E0511000 8004000B
	s_add_u32 m0, 0x200, s37                                   // 000000006CE0: 807C25FF 00000200
	v_mfma_f32_16x16x16_bf16 v[128:131], a[142:143], v[110:111], v[128:131]// 000000006CE8: D3E10080 0E02DD8E
	v_mfma_f32_16x16x16_bf16 v[132:135], a[128:129], v[112:113], v[132:135]// 000000006CF0: D3E10084 0E12E180
	buffer_load_dwordx4 a[8:11], v26, s[20:23], 0 offen offset:2048// 000000006CF8: E05C1800 8085081A
	v_mfma_f32_16x16x16_bf16 v[132:135], a[130:131], v[114:115], v[132:135]// 000000006D00: D3E10084 0E12E582
	v_mfma_f32_16x16x16_bf16 v[132:135], a[132:133], v[116:117], v[132:135]// 000000006D08: D3E10084 0E12E984
	buffer_load_dword v12, s[16:19], 0 offen lds               // 000000006D10: E0511000 8004000C
	s_add_u32 m0, 0x300, s37                                   // 000000006D18: 807C25FF 00000300
	v_mfma_f32_16x16x16_bf16 v[132:135], a[134:135], v[118:119], v[132:135]// 000000006D20: D3E10084 0E12ED86
	v_mfma_f32_16x16x16_bf16 v[132:135], a[136:137], v[120:121], v[132:135]// 000000006D28: D3E10084 0E12F188
	buffer_load_dwordx4 a[12:15], v26, s[20:23], 0 offen offset:3072// 000000006D30: E05C1C00 80850C1A
	v_mfma_f32_16x16x16_bf16 v[132:135], a[138:139], v[122:123], v[132:135]// 000000006D38: D3E10084 0E12F58A
	v_mfma_f32_16x16x16_bf16 v[132:135], a[140:141], v[124:125], v[132:135]// 000000006D40: D3E10084 0E12F98C
	buffer_load_dword v13, s[16:19], 0 offen lds               // 000000006D48: E0511000 8004000D
	s_add_u32 m0, 0x400, s37                                   // 000000006D50: 807C25FF 00000400
	v_mfma_f32_16x16x16_bf16 v[132:135], a[142:143], v[126:127], v[132:135]// 000000006D58: D3E10084 0E12FD8E
	v_mfma_f32_16x16x16_bf16 v[136:139], a[144:145], v[96:97], v[136:139]// 000000006D60: D3E10088 0E22C190
	buffer_load_dwordx4 a[16:19], v27, s[20:23], 0 offen       // 000000006D68: E05C1000 8085101B
	v_mfma_f32_16x16x16_bf16 v[136:139], a[146:147], v[98:99], v[136:139]// 000000006D70: D3E10088 0E22C592
	v_mfma_f32_16x16x16_bf16 v[136:139], a[148:149], v[100:101], v[136:139]// 000000006D78: D3E10088 0E22C994
	buffer_load_dword v14, s[16:19], 0 offen lds               // 000000006D80: E0511000 8004000E
	s_add_u32 m0, 0x500, s37                                   // 000000006D88: 807C25FF 00000500
	v_mfma_f32_16x16x16_bf16 v[136:139], a[150:151], v[102:103], v[136:139]// 000000006D90: D3E10088 0E22CD96
	v_mfma_f32_16x16x16_bf16 v[136:139], a[152:153], v[104:105], v[136:139]// 000000006D98: D3E10088 0E22D198
	buffer_load_dwordx4 a[20:23], v27, s[20:23], 0 offen offset:1024// 000000006DA0: E05C1400 8085141B
	v_mfma_f32_16x16x16_bf16 v[136:139], a[154:155], v[106:107], v[136:139]// 000000006DA8: D3E10088 0E22D59A
	v_mfma_f32_16x16x16_bf16 v[136:139], a[156:157], v[108:109], v[136:139]// 000000006DB0: D3E10088 0E22D99C
	buffer_load_dword v15, s[16:19], 0 offen lds               // 000000006DB8: E0511000 8004000F
	s_add_u32 m0, 0x600, s37                                   // 000000006DC0: 807C25FF 00000600
	v_mfma_f32_16x16x16_bf16 v[136:139], a[158:159], v[110:111], v[136:139]// 000000006DC8: D3E10088 0E22DD9E
	v_mfma_f32_16x16x16_bf16 v[140:143], a[144:145], v[112:113], v[140:143]// 000000006DD0: D3E1008C 0E32E190
	buffer_load_dwordx4 a[24:27], v27, s[20:23], 0 offen offset:2048// 000000006DD8: E05C1800 8085181B
	v_mfma_f32_16x16x16_bf16 v[140:143], a[146:147], v[114:115], v[140:143]// 000000006DE0: D3E1008C 0E32E592
	v_mfma_f32_16x16x16_bf16 v[140:143], a[148:149], v[116:117], v[140:143]// 000000006DE8: D3E1008C 0E32E994
	buffer_load_dword v16, s[16:19], 0 offen lds               // 000000006DF0: E0511000 80040010
	s_add_u32 m0, 0x700, s37                                   // 000000006DF8: 807C25FF 00000700
	v_mfma_f32_16x16x16_bf16 v[140:143], a[150:151], v[118:119], v[140:143]// 000000006E00: D3E1008C 0E32ED96
	v_mfma_f32_16x16x16_bf16 v[140:143], a[152:153], v[120:121], v[140:143]// 000000006E08: D3E1008C 0E32F198
	buffer_load_dwordx4 a[28:31], v27, s[20:23], 0 offen offset:3072// 000000006E10: E05C1C00 80851C1B
	v_mfma_f32_16x16x16_bf16 v[140:143], a[154:155], v[122:123], v[140:143]// 000000006E18: D3E1008C 0E32F59A
	v_mfma_f32_16x16x16_bf16 v[140:143], a[156:157], v[124:125], v[140:143]// 000000006E20: D3E1008C 0E32F99C
	buffer_load_dword v17, s[16:19], 0 offen lds               // 000000006E28: E0511000 80040011
	s_add_u32 m0, 0, s36                                       // 000000006E30: 807C2480
	v_mfma_f32_16x16x16_bf16 v[140:143], a[158:159], v[126:127], v[140:143]// 000000006E34: D3E1008C 0E32FD9E
	s_waitcnt vmcnt(32)                                        // 000000006E3C: BF8C8F70
	v_mfma_f32_16x16x16_bf16 v[144:147], a[160:161], v[96:97], v[144:147]// 000000006E40: D3E10090 0E42C1A0
	buffer_load_dwordx4 a[32:35], v28, s[20:23], 0 offen       // 000000006E48: E05C1000 8085201C
	v_mfma_f32_16x16x16_bf16 v[144:147], a[162:163], v[98:99], v[144:147]// 000000006E50: D3E10090 0E42C5A2
	v_mfma_f32_16x16x16_bf16 v[144:147], a[164:165], v[100:101], v[144:147]// 000000006E58: D3E10090 0E42C9A4
	ds_read_b128 v[64:67], v2                                  // 000000006E60: D9FE0000 40000002
	v_mfma_f32_16x16x16_bf16 v[144:147], a[166:167], v[102:103], v[144:147]// 000000006E68: D3E10090 0E42CDA6
	v_mfma_f32_16x16x16_bf16 v[144:147], a[168:169], v[104:105], v[144:147]// 000000006E70: D3E10090 0E42D1A8
	buffer_load_dwordx4 a[36:39], v28, s[20:23], 0 offen offset:1024// 000000006E78: E05C1400 8085241C
	v_mfma_f32_16x16x16_bf16 v[144:147], a[170:171], v[106:107], v[144:147]// 000000006E80: D3E10090 0E42D5AA
	v_mfma_f32_16x16x16_bf16 v[144:147], a[172:173], v[108:109], v[144:147]// 000000006E88: D3E10090 0E42D9AC
	ds_read_b128 v[68:71], v2 offset:64                        // 000000006E90: D9FE0040 44000002
	v_mfma_f32_16x16x16_bf16 v[144:147], a[174:175], v[110:111], v[144:147]// 000000006E98: D3E10090 0E42DDAE
	v_mfma_f32_16x16x16_bf16 v[148:151], a[160:161], v[112:113], v[148:151]// 000000006EA0: D3E10094 0E52E1A0
	buffer_load_dwordx4 a[40:43], v28, s[20:23], 0 offen offset:2048// 000000006EA8: E05C1800 8085281C
	v_mfma_f32_16x16x16_bf16 v[148:151], a[162:163], v[114:115], v[148:151]// 000000006EB0: D3E10094 0E52E5A2
	v_mfma_f32_16x16x16_bf16 v[148:151], a[164:165], v[116:117], v[148:151]// 000000006EB8: D3E10094 0E52E9A4
	ds_read_b128 v[72:75], v2 offset:128                       // 000000006EC0: D9FE0080 48000002
	v_mfma_f32_16x16x16_bf16 v[148:151], a[166:167], v[118:119], v[148:151]// 000000006EC8: D3E10094 0E52EDA6
	v_mfma_f32_16x16x16_bf16 v[148:151], a[168:169], v[120:121], v[148:151]// 000000006ED0: D3E10094 0E52F1A8
	buffer_load_dwordx4 a[44:47], v28, s[20:23], 0 offen offset:3072// 000000006ED8: E05C1C00 80852C1C
	v_mfma_f32_16x16x16_bf16 v[148:151], a[170:171], v[122:123], v[148:151]// 000000006EE0: D3E10094 0E52F5AA
	v_mfma_f32_16x16x16_bf16 v[148:151], a[172:173], v[124:125], v[148:151]// 000000006EE8: D3E10094 0E52F9AC
	ds_read_b128 v[76:79], v2 offset:192                       // 000000006EF0: D9FE00C0 4C000002
	v_mfma_f32_16x16x16_bf16 v[148:151], a[174:175], v[126:127], v[148:151]// 000000006EF8: D3E10094 0E52FDAE
	v_mfma_f32_16x16x16_bf16 v[152:155], a[176:177], v[96:97], v[152:155]// 000000006F00: D3E10098 0E62C1B0
	buffer_load_dwordx4 a[48:51], v29, s[20:23], 0 offen       // 000000006F08: E05C1000 8085301D
	v_mfma_f32_16x16x16_bf16 v[152:155], a[178:179], v[98:99], v[152:155]// 000000006F10: D3E10098 0E62C5B2
	v_mfma_f32_16x16x16_bf16 v[152:155], a[180:181], v[100:101], v[152:155]// 000000006F18: D3E10098 0E62C9B4
	ds_read_b128 v[80:83], v2 offset:1024                      // 000000006F20: D9FE0400 50000002
	v_mfma_f32_16x16x16_bf16 v[152:155], a[182:183], v[102:103], v[152:155]// 000000006F28: D3E10098 0E62CDB6
	v_mfma_f32_16x16x16_bf16 v[152:155], a[184:185], v[104:105], v[152:155]// 000000006F30: D3E10098 0E62D1B8
	buffer_load_dwordx4 a[52:55], v29, s[20:23], 0 offen offset:1024// 000000006F38: E05C1400 8085341D
	v_mfma_f32_16x16x16_bf16 v[152:155], a[186:187], v[106:107], v[152:155]// 000000006F40: D3E10098 0E62D5BA
	v_mfma_f32_16x16x16_bf16 v[152:155], a[188:189], v[108:109], v[152:155]// 000000006F48: D3E10098 0E62D9BC
	ds_read_b128 v[84:87], v2 offset:1088                      // 000000006F50: D9FE0440 54000002
	v_mfma_f32_16x16x16_bf16 v[152:155], a[190:191], v[110:111], v[152:155]// 000000006F58: D3E10098 0E62DDBE
	v_mfma_f32_16x16x16_bf16 v[156:159], a[176:177], v[112:113], v[156:159]// 000000006F60: D3E1009C 0E72E1B0
	buffer_load_dwordx4 a[56:59], v29, s[20:23], 0 offen offset:2048// 000000006F68: E05C1800 8085381D
	v_mfma_f32_16x16x16_bf16 v[156:159], a[178:179], v[114:115], v[156:159]// 000000006F70: D3E1009C 0E72E5B2
	v_mfma_f32_16x16x16_bf16 v[156:159], a[180:181], v[116:117], v[156:159]// 000000006F78: D3E1009C 0E72E9B4
	ds_read_b128 v[88:91], v2 offset:1152                      // 000000006F80: D9FE0480 58000002
	v_mfma_f32_16x16x16_bf16 v[156:159], a[182:183], v[118:119], v[156:159]// 000000006F88: D3E1009C 0E72EDB6
	v_mfma_f32_16x16x16_bf16 v[156:159], a[184:185], v[120:121], v[156:159]// 000000006F90: D3E1009C 0E72F1B8
	buffer_load_dwordx4 a[60:63], v29, s[20:23], 0 offen offset:3072// 000000006F98: E05C1C00 80853C1D
	v_mfma_f32_16x16x16_bf16 v[156:159], a[186:187], v[122:123], v[156:159]// 000000006FA0: D3E1009C 0E72F5BA
	v_mfma_f32_16x16x16_bf16 v[156:159], a[188:189], v[124:125], v[156:159]// 000000006FA8: D3E1009C 0E72F9BC
	ds_read_b128 v[92:95], v2 offset:1216                      // 000000006FB0: D9FE04C0 5C000002
	v_mfma_f32_16x16x16_bf16 v[156:159], a[190:191], v[126:127], v[156:159]// 000000006FB8: D3E1009C 0E72FDBE
	s_waitcnt vmcnt(32)                                        // 000000006FC0: BF8C8F70
	v_mfma_f32_16x16x16_bf16 v[160:163], a[192:193], v[96:97], v[160:163]// 000000006FC4: D3E100A0 0E82C1C0
	buffer_load_dwordx4 a[64:67], v30, s[20:23], 0 offen       // 000000006FCC: E05C1000 8085401E
	v_mfma_f32_16x16x16_bf16 v[160:163], a[194:195], v[98:99], v[160:163]// 000000006FD4: D3E100A0 0E82C5C2
	v_mfma_f32_16x16x16_bf16 v[160:163], a[196:197], v[100:101], v[160:163]// 000000006FDC: D3E100A0 0E82C9C4
	s_add_u32 s60, 0x180, s80                                  // 000000006FE4: 803C50FF 00000180
	s_cmp_lt_u32 s60, s81                                      // 000000006FEC: BF0A513C
	s_cselect_b32 s57, s57, 0                                  // 000000006FF0: 85398039
	v_mfma_f32_16x16x16_bf16 v[160:163], a[198:199], v[102:103], v[160:163]// 000000006FF4: D3E100A0 0E82CDC6
	v_mfma_f32_16x16x16_bf16 v[160:163], a[200:201], v[104:105], v[160:163]// 000000006FFC: D3E100A0 0E82D1C8
	buffer_load_dwordx4 a[68:71], v30, s[20:23], 0 offen offset:1024// 000000007004: E05C1400 8085441E
	v_mfma_f32_16x16x16_bf16 v[160:163], a[202:203], v[106:107], v[160:163]// 00000000700C: D3E100A0 0E82D5CA
	v_mfma_f32_16x16x16_bf16 v[160:163], a[204:205], v[108:109], v[160:163]// 000000007014: D3E100A0 0E82D9CC
	s_add_u32 s60, 0x100, s80                                  // 00000000701C: 803C50FF 00000100
	s_cmp_lt_u32 s60, s81                                      // 000000007024: BF0A513C
	s_cselect_b32 s58, s58, 0                                  // 000000007028: 853A803A
	v_mfma_f32_16x16x16_bf16 v[160:163], a[206:207], v[110:111], v[160:163]// 00000000702C: D3E100A0 0E82DDCE
	v_mfma_f32_16x16x16_bf16 v[164:167], a[192:193], v[112:113], v[164:167]// 000000007034: D3E100A4 0E92E1C0
	buffer_load_dwordx4 a[72:75], v30, s[20:23], 0 offen offset:2048// 00000000703C: E05C1800 8085481E
	v_mfma_f32_16x16x16_bf16 v[164:167], a[194:195], v[114:115], v[164:167]// 000000007044: D3E100A4 0E92E5C2
	v_mfma_f32_16x16x16_bf16 v[164:167], a[196:197], v[116:117], v[164:167]// 00000000704C: D3E100A4 0E92E9C4
	s_add_u32 s16, s57, s16                                    // 000000007054: 80101039
	s_addc_u32 s17, 0, s17                                     // 000000007058: 82111180
	v_mfma_f32_16x16x16_bf16 v[164:167], a[198:199], v[118:119], v[164:167]// 00000000705C: D3E100A4 0E92EDC6
	v_mfma_f32_16x16x16_bf16 v[164:167], a[200:201], v[120:121], v[164:167]// 000000007064: D3E100A4 0E92F1C8
	buffer_load_dwordx4 a[76:79], v30, s[20:23], 0 offen offset:3072// 00000000706C: E05C1C00 80854C1E
	v_mfma_f32_16x16x16_bf16 v[164:167], a[202:203], v[122:123], v[164:167]// 000000007074: D3E100A4 0E92F5CA
	v_mfma_f32_16x16x16_bf16 v[164:167], a[204:205], v[124:125], v[164:167]// 00000000707C: D3E100A4 0E92F9CC
	v_mfma_f32_16x16x16_bf16 v[164:167], a[206:207], v[126:127], v[164:167]// 000000007084: D3E100A4 0E92FDCE
	v_mfma_f32_16x16x16_bf16 v[168:171], a[208:209], v[96:97], v[168:171]// 00000000708C: D3E100A8 0EA2C1D0
	buffer_load_dwordx4 a[80:83], v31, s[20:23], 0 offen       // 000000007094: E05C1000 8085501F
	v_mfma_f32_16x16x16_bf16 v[168:171], a[210:211], v[98:99], v[168:171]// 00000000709C: D3E100A8 0EA2C5D2
	v_mfma_f32_16x16x16_bf16 v[168:171], a[212:213], v[100:101], v[168:171]// 0000000070A4: D3E100A8 0EA2C9D4
	v_mfma_f32_16x16x16_bf16 v[168:171], a[214:215], v[102:103], v[168:171]// 0000000070AC: D3E100A8 0EA2CDD6
	v_mfma_f32_16x16x16_bf16 v[168:171], a[216:217], v[104:105], v[168:171]// 0000000070B4: D3E100A8 0EA2D1D8
	buffer_load_dwordx4 a[84:87], v31, s[20:23], 0 offen offset:1024// 0000000070BC: E05C1400 8085541F
	v_mfma_f32_16x16x16_bf16 v[168:171], a[218:219], v[106:107], v[168:171]// 0000000070C4: D3E100A8 0EA2D5DA
	v_mfma_f32_16x16x16_bf16 v[168:171], a[220:221], v[108:109], v[168:171]// 0000000070CC: D3E100A8 0EA2D9DC
	v_mfma_f32_16x16x16_bf16 v[168:171], a[222:223], v[110:111], v[168:171]// 0000000070D4: D3E100A8 0EA2DDDE
	v_mfma_f32_16x16x16_bf16 v[172:175], a[208:209], v[112:113], v[172:175]// 0000000070DC: D3E100AC 0EB2E1D0
	buffer_load_dwordx4 a[88:91], v31, s[20:23], 0 offen offset:2048// 0000000070E4: E05C1800 8085581F
	v_mfma_f32_16x16x16_bf16 v[172:175], a[210:211], v[114:115], v[172:175]// 0000000070EC: D3E100AC 0EB2E5D2
	v_mfma_f32_16x16x16_bf16 v[172:175], a[212:213], v[116:117], v[172:175]// 0000000070F4: D3E100AC 0EB2E9D4
	v_mfma_f32_16x16x16_bf16 v[172:175], a[214:215], v[118:119], v[172:175]// 0000000070FC: D3E100AC 0EB2EDD6
	v_mfma_f32_16x16x16_bf16 v[172:175], a[216:217], v[120:121], v[172:175]// 000000007104: D3E100AC 0EB2F1D8
	buffer_load_dwordx4 a[92:95], v31, s[20:23], 0 offen offset:3072// 00000000710C: E05C1C00 80855C1F
	v_mfma_f32_16x16x16_bf16 v[172:175], a[218:219], v[122:123], v[172:175]// 000000007114: D3E100AC 0EB2F5DA
	v_mfma_f32_16x16x16_bf16 v[172:175], a[220:221], v[124:125], v[172:175]// 00000000711C: D3E100AC 0EB2F9DC
	v_mfma_f32_16x16x16_bf16 v[172:175], a[222:223], v[126:127], v[172:175]// 000000007124: D3E100AC 0EB2FDDE
	s_waitcnt vmcnt(32)                                        // 00000000712C: BF8C8F70
	v_mfma_f32_16x16x16_bf16 v[176:179], a[224:225], v[96:97], v[176:179]// 000000007130: D3E100B0 0EC2C1E0
	buffer_load_dwordx4 a[96:99], v32, s[20:23], 0 offen       // 000000007138: E05C1000 80856020
	v_mfma_f32_16x16x16_bf16 v[176:179], a[226:227], v[98:99], v[176:179]// 000000007140: D3E100B0 0EC2C5E2
	v_mfma_f32_16x16x16_bf16 v[176:179], a[228:229], v[100:101], v[176:179]// 000000007148: D3E100B0 0EC2C9E4
	v_mfma_f32_16x16x16_bf16 v[176:179], a[230:231], v[102:103], v[176:179]// 000000007150: D3E100B0 0EC2CDE6
	v_mfma_f32_16x16x16_bf16 v[176:179], a[232:233], v[104:105], v[176:179]// 000000007158: D3E100B0 0EC2D1E8
	buffer_load_dwordx4 a[100:103], v32, s[20:23], 0 offen offset:1024// 000000007160: E05C1400 80856420
	v_mfma_f32_16x16x16_bf16 v[176:179], a[234:235], v[106:107], v[176:179]// 000000007168: D3E100B0 0EC2D5EA
	v_mfma_f32_16x16x16_bf16 v[176:179], a[236:237], v[108:109], v[176:179]// 000000007170: D3E100B0 0EC2D9EC
	v_mfma_f32_16x16x16_bf16 v[176:179], a[238:239], v[110:111], v[176:179]// 000000007178: D3E100B0 0EC2DDEE
	v_mfma_f32_16x16x16_bf16 v[180:183], a[224:225], v[112:113], v[180:183]// 000000007180: D3E100B4 0ED2E1E0
	buffer_load_dwordx4 a[104:107], v32, s[20:23], 0 offen offset:2048// 000000007188: E05C1800 80856820
	v_mfma_f32_16x16x16_bf16 v[180:183], a[226:227], v[114:115], v[180:183]// 000000007190: D3E100B4 0ED2E5E2
	v_mfma_f32_16x16x16_bf16 v[180:183], a[228:229], v[116:117], v[180:183]// 000000007198: D3E100B4 0ED2E9E4
	v_mfma_f32_16x16x16_bf16 v[180:183], a[230:231], v[118:119], v[180:183]// 0000000071A0: D3E100B4 0ED2EDE6
	v_mfma_f32_16x16x16_bf16 v[180:183], a[232:233], v[120:121], v[180:183]// 0000000071A8: D3E100B4 0ED2F1E8
	buffer_load_dwordx4 a[108:111], v32, s[20:23], 0 offen offset:3072// 0000000071B0: E05C1C00 80856C20
	v_mfma_f32_16x16x16_bf16 v[180:183], a[234:235], v[122:123], v[180:183]// 0000000071B8: D3E100B4 0ED2F5EA
	v_mfma_f32_16x16x16_bf16 v[180:183], a[236:237], v[124:125], v[180:183]// 0000000071C0: D3E100B4 0ED2F9EC
	v_mfma_f32_16x16x16_bf16 v[180:183], a[238:239], v[126:127], v[180:183]// 0000000071C8: D3E100B4 0ED2FDEE
	v_mfma_f32_16x16x16_bf16 v[184:187], a[240:241], v[96:97], v[184:187]// 0000000071D0: D3E100B8 0EE2C1F0
	buffer_load_dwordx4 a[112:115], v33, s[20:23], 0 offen     // 0000000071D8: E05C1000 80857021
	v_mfma_f32_16x16x16_bf16 v[184:187], a[242:243], v[98:99], v[184:187]// 0000000071E0: D3E100B8 0EE2C5F2
	v_mfma_f32_16x16x16_bf16 v[184:187], a[244:245], v[100:101], v[184:187]// 0000000071E8: D3E100B8 0EE2C9F4
	v_mfma_f32_16x16x16_bf16 v[184:187], a[246:247], v[102:103], v[184:187]// 0000000071F0: D3E100B8 0EE2CDF6
	v_mfma_f32_16x16x16_bf16 v[184:187], a[248:249], v[104:105], v[184:187]// 0000000071F8: D3E100B8 0EE2D1F8
	buffer_load_dwordx4 a[116:119], v33, s[20:23], 0 offen offset:1024// 000000007200: E05C1400 80857421
	v_mfma_f32_16x16x16_bf16 v[184:187], a[250:251], v[106:107], v[184:187]// 000000007208: D3E100B8 0EE2D5FA
	v_mfma_f32_16x16x16_bf16 v[184:187], a[252:253], v[108:109], v[184:187]// 000000007210: D3E100B8 0EE2D9FC
	v_mfma_f32_16x16x16_bf16 v[184:187], a[254:255], v[110:111], v[184:187]// 000000007218: D3E100B8 0EE2DDFE
	v_mfma_f32_16x16x16_bf16 v[188:191], a[240:241], v[112:113], v[188:191]// 000000007220: D3E100BC 0EF2E1F0
	buffer_load_dwordx4 a[120:123], v33, s[20:23], 0 offen offset:2048// 000000007228: E05C1800 80857821
	v_mfma_f32_16x16x16_bf16 v[188:191], a[242:243], v[114:115], v[188:191]// 000000007230: D3E100BC 0EF2E5F2
	v_mfma_f32_16x16x16_bf16 v[188:191], a[244:245], v[116:117], v[188:191]// 000000007238: D3E100BC 0EF2E9F4
	v_mfma_f32_16x16x16_bf16 v[188:191], a[246:247], v[118:119], v[188:191]// 000000007240: D3E100BC 0EF2EDF6
	v_mfma_f32_16x16x16_bf16 v[188:191], a[248:249], v[120:121], v[188:191]// 000000007248: D3E100BC 0EF2F1F8
	buffer_load_dwordx4 a[124:127], v33, s[20:23], 0 offen offset:3072// 000000007250: E05C1C00 80857C21
	v_mfma_f32_16x16x16_bf16 v[188:191], a[250:251], v[122:123], v[188:191]// 000000007258: D3E100BC 0EF2F5FA
	v_mfma_f32_16x16x16_bf16 v[188:191], a[252:253], v[124:125], v[188:191]// 000000007260: D3E100BC 0EF2F9FC
	s_add_u32 s20, s58, s20                                    // 000000007268: 8014143A
	s_addc_u32 s21, 0, s21                                     // 00000000726C: 82151580
	v_mfma_f32_16x16x16_bf16 v[188:191], a[254:255], v[126:127], v[188:191]// 000000007270: D3E100BC 0EF2FDFE
	s_addk_i32 s80, 0x80                                       // 000000007278: B7500080
	s_cmp_lt_i32 s80, s81                                      // 00000000727C: BF045150
	s_cbranch_scc0 label_11E2                                  // 000000007280: BF840001
	s_branch label_0EDB                                        // 000000007284: BF82FCF9

0000000000007288 <label_11E2>:
	s_mov_b32 s38, -1                                          // 000000007288: BEA600C1
	s_mov_b32 s39, -1                                          // 00000000728C: BEA700C1
	s_mov_b64 s[60:61], 0                                      // 000000007290: BEBC0180
	s_cmp_lt_u32 s82, s66                                      // 000000007294: BF0A4252
	s_cselect_b64 s[16:17], s[38:39], s[60:61]                 // 000000007298: 85903C26
	s_cmp_lt_u32 s83, s66                                      // 00000000729C: BF0A4253
	s_cselect_b64 s[18:19], s[38:39], s[60:61]                 // 0000000072A0: 85923C26
	s_cmp_lt_u32 s84, s66                                      // 0000000072A4: BF0A4254
	s_cselect_b64 s[20:21], s[38:39], s[60:61]                 // 0000000072A8: 85943C26
	s_cmp_lt_u32 s85, s66                                      // 0000000072AC: BF0A4255
	s_cselect_b64 s[22:23], s[38:39], s[60:61]                 // 0000000072B0: 85963C26
	s_cmp_lt_u32 s86, s66                                      // 0000000072B4: BF0A4256
	s_cselect_b64 s[24:25], s[38:39], s[60:61]                 // 0000000072B8: 85983C26
	s_cmp_lt_u32 s87, s66                                      // 0000000072BC: BF0A4257
	s_cselect_b64 s[26:27], s[38:39], s[60:61]                 // 0000000072C0: 859A3C26
	s_cmp_lt_u32 s88, s66                                      // 0000000072C4: BF0A4258
	s_cselect_b64 s[28:29], s[38:39], s[60:61]                 // 0000000072C8: 859C3C26
	s_cmp_lt_u32 s89, s66                                      // 0000000072CC: BF0A4259
	s_cselect_b64 s[30:31], s[38:39], s[60:61]                 // 0000000072D0: 859E3C26
	s_waitcnt vmcnt(24)                                        // 0000000072D4: BF8C4F78
	buffer_load_dwordx4 a[0:3], v18, s[12:15], 0 offen         // 0000000072D8: E05C1000 80830012
	v_mul_f32_e32 v54, v128, v128                              // 0000000072E0: 0A6D0180
	v_mul_f32_e32 v55, v129, v129                              // 0000000072E4: 0A6F0381
	v_mul_f32_e32 v56, v130, v130                              // 0000000072E8: 0A710582
	v_mul_f32_e32 v57, v131, v131                              // 0000000072EC: 0A730783
	v_fma_f32 v54, v54, s77, v5                                // 0000000072F0: D1CB0036 04149B36
	v_fma_f32 v55, v55, s77, v5                                // 0000000072F8: D1CB0037 04149B37
	v_fma_f32 v56, v56, s77, v5                                // 000000007300: D1CB0038 04149B38
	v_fma_f32 v57, v57, s77, v5                                // 000000007308: D1CB0039 04149B39
	v_mul_f32_e32 v54, v54, v128                               // 000000007310: 0A6D0136
	v_mul_f32_e32 v55, v55, v129                               // 000000007314: 0A6F0337
	v_mul_f32_e32 v56, v56, v130                               // 000000007318: 0A710538
	v_mul_f32_e32 v57, v57, v131                               // 00000000731C: 0A730739
	v_mul_f32_e64 v54, v54, s6                                 // 000000007320: D1050036 00000D36
	v_mul_f32_e64 v55, v55, s6                                 // 000000007328: D1050037 00000D37
	v_mul_f32_e64 v56, v56, s6                                 // 000000007330: D1050038 00000D38
	v_mul_f32_e64 v57, v57, s6                                 // 000000007338: D1050039 00000D39
	v_exp_f32_e32 v54, v54                                     // 000000007340: 7E6C4136
	v_exp_f32_e32 v55, v55                                     // 000000007344: 7E6E4137
	v_exp_f32_e32 v56, v56                                     // 000000007348: 7E704138
	buffer_load_dwordx4 a[4:7], v18, s[12:15], 0 offen offset:1024// 00000000734C: E05C1400 80830412
	v_exp_f32_e32 v57, v57                                     // 000000007354: 7E724139
	v_add_f32_e64 v54, v54, 1.0                                // 000000007358: D1010036 0001E536
	v_add_f32_e64 v55, v55, 1.0                                // 000000007360: D1010037 0001E537
	v_add_f32_e64 v56, v56, 1.0                                // 000000007368: D1010038 0001E538
	v_add_f32_e64 v57, v57, 1.0                                // 000000007370: D1010039 0001E539
	v_rcp_f32_e32 v54, v54                                     // 000000007378: 7E6C4536
	v_rcp_f32_e32 v55, v55                                     // 00000000737C: 7E6E4537
	v_rcp_f32_e32 v56, v56                                     // 000000007380: 7E704538
	v_rcp_f32_e32 v57, v57                                     // 000000007384: 7E724539
	v_mul_f32_e32 v128, v128, v54                              // 000000007388: 0B006D80
	v_mul_f32_e32 v129, v129, v55                              // 00000000738C: 0B026F81
	v_mul_f32_e32 v130, v130, v56                              // 000000007390: 0B047182
	v_mul_f32_e32 v131, v131, v57                              // 000000007394: 0B067383
	buffer_load_dwordx4 a[8:11], v18, s[12:15], 0 offen offset:2048// 000000007398: E05C1800 80830812
	v_mul_f32_e32 v54, v132, v132                              // 0000000073A0: 0A6D0984
	v_mul_f32_e32 v55, v133, v133                              // 0000000073A4: 0A6F0B85
	v_mul_f32_e32 v56, v134, v134                              // 0000000073A8: 0A710D86
	v_mul_f32_e32 v57, v135, v135                              // 0000000073AC: 0A730F87
	v_fma_f32 v54, v54, s77, v5                                // 0000000073B0: D1CB0036 04149B36
	v_fma_f32 v55, v55, s77, v5                                // 0000000073B8: D1CB0037 04149B37
	v_fma_f32 v56, v56, s77, v5                                // 0000000073C0: D1CB0038 04149B38
	v_fma_f32 v57, v57, s77, v5                                // 0000000073C8: D1CB0039 04149B39
	v_mul_f32_e32 v54, v54, v132                               // 0000000073D0: 0A6D0936
	v_mul_f32_e32 v55, v55, v133                               // 0000000073D4: 0A6F0B37
	v_mul_f32_e32 v56, v56, v134                               // 0000000073D8: 0A710D38
	v_mul_f32_e32 v57, v57, v135                               // 0000000073DC: 0A730F39
	v_mul_f32_e64 v54, v54, s6                                 // 0000000073E0: D1050036 00000D36
	v_mul_f32_e64 v55, v55, s6                                 // 0000000073E8: D1050037 00000D37
	v_mul_f32_e64 v56, v56, s6                                 // 0000000073F0: D1050038 00000D38
	v_mul_f32_e64 v57, v57, s6                                 // 0000000073F8: D1050039 00000D39
	v_exp_f32_e32 v54, v54                                     // 000000007400: 7E6C4136
	v_exp_f32_e32 v55, v55                                     // 000000007404: 7E6E4137
	v_exp_f32_e32 v56, v56                                     // 000000007408: 7E704138
	buffer_load_dwordx4 a[12:15], v18, s[12:15], 0 offen offset:3072// 00000000740C: E05C1C00 80830C12
	v_exp_f32_e32 v57, v57                                     // 000000007414: 7E724139
	v_add_f32_e64 v54, v54, 1.0                                // 000000007418: D1010036 0001E536
	v_add_f32_e64 v55, v55, 1.0                                // 000000007420: D1010037 0001E537
	v_add_f32_e64 v56, v56, 1.0                                // 000000007428: D1010038 0001E538
	v_add_f32_e64 v57, v57, 1.0                                // 000000007430: D1010039 0001E539
	v_rcp_f32_e32 v54, v54                                     // 000000007438: 7E6C4536
	v_rcp_f32_e32 v55, v55                                     // 00000000743C: 7E6E4537
	v_rcp_f32_e32 v56, v56                                     // 000000007440: 7E704538
	v_rcp_f32_e32 v57, v57                                     // 000000007444: 7E724539
	v_mul_f32_e32 v132, v132, v54                              // 000000007448: 0B086D84
	v_mul_f32_e32 v133, v133, v55                              // 00000000744C: 0B0A6F85
	v_mul_f32_e32 v134, v134, v56                              // 000000007450: 0B0C7186
	v_mul_f32_e32 v135, v135, v57                              // 000000007454: 0B0E7387
	buffer_load_dwordx4 a[16:19], v19, s[12:15], 0 offen       // 000000007458: E05C1000 80831013
	v_mul_f32_e32 v54, v136, v136                              // 000000007460: 0A6D1188
	v_mul_f32_e32 v55, v137, v137                              // 000000007464: 0A6F1389
	v_mul_f32_e32 v56, v138, v138                              // 000000007468: 0A71158A
	v_mul_f32_e32 v57, v139, v139                              // 00000000746C: 0A73178B
	v_fma_f32 v54, v54, s77, v5                                // 000000007470: D1CB0036 04149B36
	v_fma_f32 v55, v55, s77, v5                                // 000000007478: D1CB0037 04149B37
	v_fma_f32 v56, v56, s77, v5                                // 000000007480: D1CB0038 04149B38
	v_fma_f32 v57, v57, s77, v5                                // 000000007488: D1CB0039 04149B39
	v_mul_f32_e32 v54, v54, v136                               // 000000007490: 0A6D1136
	v_mul_f32_e32 v55, v55, v137                               // 000000007494: 0A6F1337
	v_mul_f32_e32 v56, v56, v138                               // 000000007498: 0A711538
	v_mul_f32_e32 v57, v57, v139                               // 00000000749C: 0A731739
	v_mul_f32_e64 v54, v54, s6                                 // 0000000074A0: D1050036 00000D36
	v_mul_f32_e64 v55, v55, s6                                 // 0000000074A8: D1050037 00000D37
	v_mul_f32_e64 v56, v56, s6                                 // 0000000074B0: D1050038 00000D38
	v_mul_f32_e64 v57, v57, s6                                 // 0000000074B8: D1050039 00000D39
	v_exp_f32_e32 v54, v54                                     // 0000000074C0: 7E6C4136
	v_exp_f32_e32 v55, v55                                     // 0000000074C4: 7E6E4137
	v_exp_f32_e32 v56, v56                                     // 0000000074C8: 7E704138
	buffer_load_dwordx4 a[20:23], v19, s[12:15], 0 offen offset:1024// 0000000074CC: E05C1400 80831413
	v_exp_f32_e32 v57, v57                                     // 0000000074D4: 7E724139
	v_add_f32_e64 v54, v54, 1.0                                // 0000000074D8: D1010036 0001E536
	v_add_f32_e64 v55, v55, 1.0                                // 0000000074E0: D1010037 0001E537
	v_add_f32_e64 v56, v56, 1.0                                // 0000000074E8: D1010038 0001E538
	v_add_f32_e64 v57, v57, 1.0                                // 0000000074F0: D1010039 0001E539
	v_rcp_f32_e32 v54, v54                                     // 0000000074F8: 7E6C4536
	v_rcp_f32_e32 v55, v55                                     // 0000000074FC: 7E6E4537
	v_rcp_f32_e32 v56, v56                                     // 000000007500: 7E704538
	v_rcp_f32_e32 v57, v57                                     // 000000007504: 7E724539
	v_mul_f32_e32 v136, v136, v54                              // 000000007508: 0B106D88
	v_mul_f32_e32 v137, v137, v55                              // 00000000750C: 0B126F89
	v_mul_f32_e32 v138, v138, v56                              // 000000007510: 0B14718A
	v_mul_f32_e32 v139, v139, v57                              // 000000007514: 0B16738B
	buffer_load_dwordx4 a[24:27], v19, s[12:15], 0 offen offset:2048// 000000007518: E05C1800 80831813
	v_mul_f32_e32 v54, v140, v140                              // 000000007520: 0A6D198C
	v_mul_f32_e32 v55, v141, v141                              // 000000007524: 0A6F1B8D
	v_mul_f32_e32 v56, v142, v142                              // 000000007528: 0A711D8E
	v_mul_f32_e32 v57, v143, v143                              // 00000000752C: 0A731F8F
	v_fma_f32 v54, v54, s77, v5                                // 000000007530: D1CB0036 04149B36
	v_fma_f32 v55, v55, s77, v5                                // 000000007538: D1CB0037 04149B37
	v_fma_f32 v56, v56, s77, v5                                // 000000007540: D1CB0038 04149B38
	v_fma_f32 v57, v57, s77, v5                                // 000000007548: D1CB0039 04149B39
	v_mul_f32_e32 v54, v54, v140                               // 000000007550: 0A6D1936
	v_mul_f32_e32 v55, v55, v141                               // 000000007554: 0A6F1B37
	v_mul_f32_e32 v56, v56, v142                               // 000000007558: 0A711D38
	v_mul_f32_e32 v57, v57, v143                               // 00000000755C: 0A731F39
	v_mul_f32_e64 v54, v54, s6                                 // 000000007560: D1050036 00000D36
	v_mul_f32_e64 v55, v55, s6                                 // 000000007568: D1050037 00000D37
	v_mul_f32_e64 v56, v56, s6                                 // 000000007570: D1050038 00000D38
	v_mul_f32_e64 v57, v57, s6                                 // 000000007578: D1050039 00000D39
	v_exp_f32_e32 v54, v54                                     // 000000007580: 7E6C4136
	v_exp_f32_e32 v55, v55                                     // 000000007584: 7E6E4137
	v_exp_f32_e32 v56, v56                                     // 000000007588: 7E704138
	buffer_load_dwordx4 a[28:31], v19, s[12:15], 0 offen offset:3072// 00000000758C: E05C1C00 80831C13
	v_exp_f32_e32 v57, v57                                     // 000000007594: 7E724139
	v_add_f32_e64 v54, v54, 1.0                                // 000000007598: D1010036 0001E536
	v_add_f32_e64 v55, v55, 1.0                                // 0000000075A0: D1010037 0001E537
	v_add_f32_e64 v56, v56, 1.0                                // 0000000075A8: D1010038 0001E538
	v_add_f32_e64 v57, v57, 1.0                                // 0000000075B0: D1010039 0001E539
	v_rcp_f32_e32 v54, v54                                     // 0000000075B8: 7E6C4536
	v_rcp_f32_e32 v55, v55                                     // 0000000075BC: 7E6E4537
	v_rcp_f32_e32 v56, v56                                     // 0000000075C0: 7E704538
	v_rcp_f32_e32 v57, v57                                     // 0000000075C4: 7E724539
	v_mul_f32_e32 v140, v140, v54                              // 0000000075C8: 0B186D8C
	v_mul_f32_e32 v141, v141, v55                              // 0000000075CC: 0B1A6F8D
	v_mul_f32_e32 v142, v142, v56                              // 0000000075D0: 0B1C718E
	v_mul_f32_e32 v143, v143, v57                              // 0000000075D4: 0B1E738F
	s_waitcnt vmcnt(24)                                        // 0000000075D8: BF8C4F78
	buffer_load_dwordx4 a[32:35], v20, s[12:15], 0 offen       // 0000000075DC: E05C1000 80832014
	v_mul_f32_e32 v54, v144, v144                              // 0000000075E4: 0A6D2190
	v_mul_f32_e32 v55, v145, v145                              // 0000000075E8: 0A6F2391
	v_mul_f32_e32 v56, v146, v146                              // 0000000075EC: 0A712592
	v_mul_f32_e32 v57, v147, v147                              // 0000000075F0: 0A732793
	v_fma_f32 v54, v54, s77, v5                                // 0000000075F4: D1CB0036 04149B36
	v_fma_f32 v55, v55, s77, v5                                // 0000000075FC: D1CB0037 04149B37
	v_fma_f32 v56, v56, s77, v5                                // 000000007604: D1CB0038 04149B38
	v_fma_f32 v57, v57, s77, v5                                // 00000000760C: D1CB0039 04149B39
	v_mul_f32_e32 v54, v54, v144                               // 000000007614: 0A6D2136
	v_mul_f32_e32 v55, v55, v145                               // 000000007618: 0A6F2337
	v_mul_f32_e32 v56, v56, v146                               // 00000000761C: 0A712538
	v_mul_f32_e32 v57, v57, v147                               // 000000007620: 0A732739
	v_mul_f32_e64 v54, v54, s6                                 // 000000007624: D1050036 00000D36
	v_mul_f32_e64 v55, v55, s6                                 // 00000000762C: D1050037 00000D37
	v_mul_f32_e64 v56, v56, s6                                 // 000000007634: D1050038 00000D38
	v_mul_f32_e64 v57, v57, s6                                 // 00000000763C: D1050039 00000D39
	v_exp_f32_e32 v54, v54                                     // 000000007644: 7E6C4136
	v_exp_f32_e32 v55, v55                                     // 000000007648: 7E6E4137
	v_exp_f32_e32 v56, v56                                     // 00000000764C: 7E704138
	buffer_load_dwordx4 a[36:39], v20, s[12:15], 0 offen offset:1024// 000000007650: E05C1400 80832414
	v_exp_f32_e32 v57, v57                                     // 000000007658: 7E724139
	v_add_f32_e64 v54, v54, 1.0                                // 00000000765C: D1010036 0001E536
	v_add_f32_e64 v55, v55, 1.0                                // 000000007664: D1010037 0001E537
	v_add_f32_e64 v56, v56, 1.0                                // 00000000766C: D1010038 0001E538
	v_add_f32_e64 v57, v57, 1.0                                // 000000007674: D1010039 0001E539
	v_rcp_f32_e32 v54, v54                                     // 00000000767C: 7E6C4536
	v_rcp_f32_e32 v55, v55                                     // 000000007680: 7E6E4537
	v_rcp_f32_e32 v56, v56                                     // 000000007684: 7E704538
	v_rcp_f32_e32 v57, v57                                     // 000000007688: 7E724539
	v_mul_f32_e32 v144, v144, v54                              // 00000000768C: 0B206D90
	v_mul_f32_e32 v145, v145, v55                              // 000000007690: 0B226F91
	v_mul_f32_e32 v146, v146, v56                              // 000000007694: 0B247192
	v_mul_f32_e32 v147, v147, v57                              // 000000007698: 0B267393
	buffer_load_dwordx4 a[40:43], v20, s[12:15], 0 offen offset:2048// 00000000769C: E05C1800 80832814
	v_mul_f32_e32 v54, v148, v148                              // 0000000076A4: 0A6D2994
	v_mul_f32_e32 v55, v149, v149                              // 0000000076A8: 0A6F2B95
	v_mul_f32_e32 v56, v150, v150                              // 0000000076AC: 0A712D96
	v_mul_f32_e32 v57, v151, v151                              // 0000000076B0: 0A732F97
	v_fma_f32 v54, v54, s77, v5                                // 0000000076B4: D1CB0036 04149B36
	v_fma_f32 v55, v55, s77, v5                                // 0000000076BC: D1CB0037 04149B37
	v_fma_f32 v56, v56, s77, v5                                // 0000000076C4: D1CB0038 04149B38
	v_fma_f32 v57, v57, s77, v5                                // 0000000076CC: D1CB0039 04149B39
	v_mul_f32_e32 v54, v54, v148                               // 0000000076D4: 0A6D2936
	v_mul_f32_e32 v55, v55, v149                               // 0000000076D8: 0A6F2B37
	v_mul_f32_e32 v56, v56, v150                               // 0000000076DC: 0A712D38
	v_mul_f32_e32 v57, v57, v151                               // 0000000076E0: 0A732F39
	v_mul_f32_e64 v54, v54, s6                                 // 0000000076E4: D1050036 00000D36
	v_mul_f32_e64 v55, v55, s6                                 // 0000000076EC: D1050037 00000D37
	v_mul_f32_e64 v56, v56, s6                                 // 0000000076F4: D1050038 00000D38
	v_mul_f32_e64 v57, v57, s6                                 // 0000000076FC: D1050039 00000D39
	v_exp_f32_e32 v54, v54                                     // 000000007704: 7E6C4136
	v_exp_f32_e32 v55, v55                                     // 000000007708: 7E6E4137
	v_exp_f32_e32 v56, v56                                     // 00000000770C: 7E704138
	buffer_load_dwordx4 a[44:47], v20, s[12:15], 0 offen offset:3072// 000000007710: E05C1C00 80832C14
	v_exp_f32_e32 v57, v57                                     // 000000007718: 7E724139
	v_add_f32_e64 v54, v54, 1.0                                // 00000000771C: D1010036 0001E536
	v_add_f32_e64 v55, v55, 1.0                                // 000000007724: D1010037 0001E537
	v_add_f32_e64 v56, v56, 1.0                                // 00000000772C: D1010038 0001E538
	v_add_f32_e64 v57, v57, 1.0                                // 000000007734: D1010039 0001E539
	v_rcp_f32_e32 v54, v54                                     // 00000000773C: 7E6C4536
	v_rcp_f32_e32 v55, v55                                     // 000000007740: 7E6E4537
	v_rcp_f32_e32 v56, v56                                     // 000000007744: 7E704538
	v_rcp_f32_e32 v57, v57                                     // 000000007748: 7E724539
	v_mul_f32_e32 v148, v148, v54                              // 00000000774C: 0B286D94
	v_mul_f32_e32 v149, v149, v55                              // 000000007750: 0B2A6F95
	v_mul_f32_e32 v150, v150, v56                              // 000000007754: 0B2C7196
	v_mul_f32_e32 v151, v151, v57                              // 000000007758: 0B2E7397
	buffer_load_dwordx4 a[48:51], v21, s[12:15], 0 offen       // 00000000775C: E05C1000 80833015
	v_mul_f32_e32 v54, v152, v152                              // 000000007764: 0A6D3198
	v_mul_f32_e32 v55, v153, v153                              // 000000007768: 0A6F3399
	v_mul_f32_e32 v56, v154, v154                              // 00000000776C: 0A71359A
	v_mul_f32_e32 v57, v155, v155                              // 000000007770: 0A73379B
	v_fma_f32 v54, v54, s77, v5                                // 000000007774: D1CB0036 04149B36
	v_fma_f32 v55, v55, s77, v5                                // 00000000777C: D1CB0037 04149B37
	v_fma_f32 v56, v56, s77, v5                                // 000000007784: D1CB0038 04149B38
	v_fma_f32 v57, v57, s77, v5                                // 00000000778C: D1CB0039 04149B39
	v_mul_f32_e32 v54, v54, v152                               // 000000007794: 0A6D3136
	v_mul_f32_e32 v55, v55, v153                               // 000000007798: 0A6F3337
	v_mul_f32_e32 v56, v56, v154                               // 00000000779C: 0A713538
	v_mul_f32_e32 v57, v57, v155                               // 0000000077A0: 0A733739
	v_mul_f32_e64 v54, v54, s6                                 // 0000000077A4: D1050036 00000D36
	v_mul_f32_e64 v55, v55, s6                                 // 0000000077AC: D1050037 00000D37
	v_mul_f32_e64 v56, v56, s6                                 // 0000000077B4: D1050038 00000D38
	v_mul_f32_e64 v57, v57, s6                                 // 0000000077BC: D1050039 00000D39
	v_exp_f32_e32 v54, v54                                     // 0000000077C4: 7E6C4136
	v_exp_f32_e32 v55, v55                                     // 0000000077C8: 7E6E4137
	v_exp_f32_e32 v56, v56                                     // 0000000077CC: 7E704138
	buffer_load_dwordx4 a[52:55], v21, s[12:15], 0 offen offset:1024// 0000000077D0: E05C1400 80833415
	v_exp_f32_e32 v57, v57                                     // 0000000077D8: 7E724139
	v_add_f32_e64 v54, v54, 1.0                                // 0000000077DC: D1010036 0001E536
	v_add_f32_e64 v55, v55, 1.0                                // 0000000077E4: D1010037 0001E537
	v_add_f32_e64 v56, v56, 1.0                                // 0000000077EC: D1010038 0001E538
	v_add_f32_e64 v57, v57, 1.0                                // 0000000077F4: D1010039 0001E539
	v_rcp_f32_e32 v54, v54                                     // 0000000077FC: 7E6C4536
	v_rcp_f32_e32 v55, v55                                     // 000000007800: 7E6E4537
	v_rcp_f32_e32 v56, v56                                     // 000000007804: 7E704538
	v_rcp_f32_e32 v57, v57                                     // 000000007808: 7E724539
	v_mul_f32_e32 v152, v152, v54                              // 00000000780C: 0B306D98
	v_mul_f32_e32 v153, v153, v55                              // 000000007810: 0B326F99
	v_mul_f32_e32 v154, v154, v56                              // 000000007814: 0B34719A
	v_mul_f32_e32 v155, v155, v57                              // 000000007818: 0B36739B
	buffer_load_dwordx4 a[56:59], v21, s[12:15], 0 offen offset:2048// 00000000781C: E05C1800 80833815
	v_mul_f32_e32 v54, v156, v156                              // 000000007824: 0A6D399C
	v_mul_f32_e32 v55, v157, v157                              // 000000007828: 0A6F3B9D
	v_mul_f32_e32 v56, v158, v158                              // 00000000782C: 0A713D9E
	v_mul_f32_e32 v57, v159, v159                              // 000000007830: 0A733F9F
	v_fma_f32 v54, v54, s77, v5                                // 000000007834: D1CB0036 04149B36
	v_fma_f32 v55, v55, s77, v5                                // 00000000783C: D1CB0037 04149B37
	v_fma_f32 v56, v56, s77, v5                                // 000000007844: D1CB0038 04149B38
	v_fma_f32 v57, v57, s77, v5                                // 00000000784C: D1CB0039 04149B39
	v_mul_f32_e32 v54, v54, v156                               // 000000007854: 0A6D3936
	v_mul_f32_e32 v55, v55, v157                               // 000000007858: 0A6F3B37
	v_mul_f32_e32 v56, v56, v158                               // 00000000785C: 0A713D38
	v_mul_f32_e32 v57, v57, v159                               // 000000007860: 0A733F39
	v_mul_f32_e64 v54, v54, s6                                 // 000000007864: D1050036 00000D36
	v_mul_f32_e64 v55, v55, s6                                 // 00000000786C: D1050037 00000D37
	v_mul_f32_e64 v56, v56, s6                                 // 000000007874: D1050038 00000D38
	v_mul_f32_e64 v57, v57, s6                                 // 00000000787C: D1050039 00000D39
	v_exp_f32_e32 v54, v54                                     // 000000007884: 7E6C4136
	v_exp_f32_e32 v55, v55                                     // 000000007888: 7E6E4137
	v_exp_f32_e32 v56, v56                                     // 00000000788C: 7E704138
	buffer_load_dwordx4 a[60:63], v21, s[12:15], 0 offen offset:3072// 000000007890: E05C1C00 80833C15
	v_exp_f32_e32 v57, v57                                     // 000000007898: 7E724139
	v_add_f32_e64 v54, v54, 1.0                                // 00000000789C: D1010036 0001E536
	v_add_f32_e64 v55, v55, 1.0                                // 0000000078A4: D1010037 0001E537
	v_add_f32_e64 v56, v56, 1.0                                // 0000000078AC: D1010038 0001E538
	v_add_f32_e64 v57, v57, 1.0                                // 0000000078B4: D1010039 0001E539
	v_rcp_f32_e32 v54, v54                                     // 0000000078BC: 7E6C4536
	v_rcp_f32_e32 v55, v55                                     // 0000000078C0: 7E6E4537
	v_rcp_f32_e32 v56, v56                                     // 0000000078C4: 7E704538
	v_rcp_f32_e32 v57, v57                                     // 0000000078C8: 7E724539
	v_mul_f32_e32 v156, v156, v54                              // 0000000078CC: 0B386D9C
	v_mul_f32_e32 v157, v157, v55                              // 0000000078D0: 0B3A6F9D
	v_mul_f32_e32 v158, v158, v56                              // 0000000078D4: 0B3C719E
	v_mul_f32_e32 v159, v159, v57                              // 0000000078D8: 0B3E739F
	s_waitcnt vmcnt(24)                                        // 0000000078DC: BF8C4F78
	buffer_load_dwordx4 a[64:67], v22, s[12:15], 0 offen       // 0000000078E0: E05C1000 80834016
	v_mul_f32_e32 v54, v160, v160                              // 0000000078E8: 0A6D41A0
	v_mul_f32_e32 v55, v161, v161                              // 0000000078EC: 0A6F43A1
	v_mul_f32_e32 v56, v162, v162                              // 0000000078F0: 0A7145A2
	v_mul_f32_e32 v57, v163, v163                              // 0000000078F4: 0A7347A3
	v_fma_f32 v54, v54, s77, v5                                // 0000000078F8: D1CB0036 04149B36
	v_fma_f32 v55, v55, s77, v5                                // 000000007900: D1CB0037 04149B37
	v_fma_f32 v56, v56, s77, v5                                // 000000007908: D1CB0038 04149B38
	v_fma_f32 v57, v57, s77, v5                                // 000000007910: D1CB0039 04149B39
	v_mul_f32_e32 v54, v54, v160                               // 000000007918: 0A6D4136
	v_mul_f32_e32 v55, v55, v161                               // 00000000791C: 0A6F4337
	v_mul_f32_e32 v56, v56, v162                               // 000000007920: 0A714538
	v_mul_f32_e32 v57, v57, v163                               // 000000007924: 0A734739
	v_mul_f32_e64 v54, v54, s6                                 // 000000007928: D1050036 00000D36
	v_mul_f32_e64 v55, v55, s6                                 // 000000007930: D1050037 00000D37
	v_mul_f32_e64 v56, v56, s6                                 // 000000007938: D1050038 00000D38
	v_mul_f32_e64 v57, v57, s6                                 // 000000007940: D1050039 00000D39
	v_exp_f32_e32 v54, v54                                     // 000000007948: 7E6C4136
	v_exp_f32_e32 v55, v55                                     // 00000000794C: 7E6E4137
	v_exp_f32_e32 v56, v56                                     // 000000007950: 7E704138
	buffer_load_dwordx4 a[68:71], v22, s[12:15], 0 offen offset:1024// 000000007954: E05C1400 80834416
	v_exp_f32_e32 v57, v57                                     // 00000000795C: 7E724139
	v_add_f32_e64 v54, v54, 1.0                                // 000000007960: D1010036 0001E536
	v_add_f32_e64 v55, v55, 1.0                                // 000000007968: D1010037 0001E537
	v_add_f32_e64 v56, v56, 1.0                                // 000000007970: D1010038 0001E538
	v_add_f32_e64 v57, v57, 1.0                                // 000000007978: D1010039 0001E539
	v_rcp_f32_e32 v54, v54                                     // 000000007980: 7E6C4536
	v_rcp_f32_e32 v55, v55                                     // 000000007984: 7E6E4537
	v_rcp_f32_e32 v56, v56                                     // 000000007988: 7E704538
	v_rcp_f32_e32 v57, v57                                     // 00000000798C: 7E724539
	v_mul_f32_e32 v160, v160, v54                              // 000000007990: 0B406DA0
	v_mul_f32_e32 v161, v161, v55                              // 000000007994: 0B426FA1
	v_mul_f32_e32 v162, v162, v56                              // 000000007998: 0B4471A2
	v_mul_f32_e32 v163, v163, v57                              // 00000000799C: 0B4673A3
	buffer_load_dwordx4 a[72:75], v22, s[12:15], 0 offen offset:2048// 0000000079A0: E05C1800 80834816
	v_mul_f32_e32 v54, v164, v164                              // 0000000079A8: 0A6D49A4
	v_mul_f32_e32 v55, v165, v165                              // 0000000079AC: 0A6F4BA5
	v_mul_f32_e32 v56, v166, v166                              // 0000000079B0: 0A714DA6
	v_mul_f32_e32 v57, v167, v167                              // 0000000079B4: 0A734FA7
	v_fma_f32 v54, v54, s77, v5                                // 0000000079B8: D1CB0036 04149B36
	v_fma_f32 v55, v55, s77, v5                                // 0000000079C0: D1CB0037 04149B37
	v_fma_f32 v56, v56, s77, v5                                // 0000000079C8: D1CB0038 04149B38
	v_fma_f32 v57, v57, s77, v5                                // 0000000079D0: D1CB0039 04149B39
	v_mul_f32_e32 v54, v54, v164                               // 0000000079D8: 0A6D4936
	v_mul_f32_e32 v55, v55, v165                               // 0000000079DC: 0A6F4B37
	v_mul_f32_e32 v56, v56, v166                               // 0000000079E0: 0A714D38
	v_mul_f32_e32 v57, v57, v167                               // 0000000079E4: 0A734F39
	v_mul_f32_e64 v54, v54, s6                                 // 0000000079E8: D1050036 00000D36
	v_mul_f32_e64 v55, v55, s6                                 // 0000000079F0: D1050037 00000D37
	v_mul_f32_e64 v56, v56, s6                                 // 0000000079F8: D1050038 00000D38
	v_mul_f32_e64 v57, v57, s6                                 // 000000007A00: D1050039 00000D39
	v_exp_f32_e32 v54, v54                                     // 000000007A08: 7E6C4136
	v_exp_f32_e32 v55, v55                                     // 000000007A0C: 7E6E4137
	v_exp_f32_e32 v56, v56                                     // 000000007A10: 7E704138
	buffer_load_dwordx4 a[76:79], v22, s[12:15], 0 offen offset:3072// 000000007A14: E05C1C00 80834C16
	v_exp_f32_e32 v57, v57                                     // 000000007A1C: 7E724139
	v_add_f32_e64 v54, v54, 1.0                                // 000000007A20: D1010036 0001E536
	v_add_f32_e64 v55, v55, 1.0                                // 000000007A28: D1010037 0001E537
	v_add_f32_e64 v56, v56, 1.0                                // 000000007A30: D1010038 0001E538
	v_add_f32_e64 v57, v57, 1.0                                // 000000007A38: D1010039 0001E539
	v_rcp_f32_e32 v54, v54                                     // 000000007A40: 7E6C4536
	v_rcp_f32_e32 v55, v55                                     // 000000007A44: 7E6E4537
	v_rcp_f32_e32 v56, v56                                     // 000000007A48: 7E704538
	v_rcp_f32_e32 v57, v57                                     // 000000007A4C: 7E724539
	v_mul_f32_e32 v164, v164, v54                              // 000000007A50: 0B486DA4
	v_mul_f32_e32 v165, v165, v55                              // 000000007A54: 0B4A6FA5
	v_mul_f32_e32 v166, v166, v56                              // 000000007A58: 0B4C71A6
	v_mul_f32_e32 v167, v167, v57                              // 000000007A5C: 0B4E73A7
	buffer_load_dwordx4 a[80:83], v23, s[12:15], 0 offen       // 000000007A60: E05C1000 80835017
	v_mul_f32_e32 v54, v168, v168                              // 000000007A68: 0A6D51A8
	v_mul_f32_e32 v55, v169, v169                              // 000000007A6C: 0A6F53A9
	v_mul_f32_e32 v56, v170, v170                              // 000000007A70: 0A7155AA
	v_mul_f32_e32 v57, v171, v171                              // 000000007A74: 0A7357AB
	v_fma_f32 v54, v54, s77, v5                                // 000000007A78: D1CB0036 04149B36
	v_fma_f32 v55, v55, s77, v5                                // 000000007A80: D1CB0037 04149B37
	v_fma_f32 v56, v56, s77, v5                                // 000000007A88: D1CB0038 04149B38
	v_fma_f32 v57, v57, s77, v5                                // 000000007A90: D1CB0039 04149B39
	v_mul_f32_e32 v54, v54, v168                               // 000000007A98: 0A6D5136
	v_mul_f32_e32 v55, v55, v169                               // 000000007A9C: 0A6F5337
	v_mul_f32_e32 v56, v56, v170                               // 000000007AA0: 0A715538
	v_mul_f32_e32 v57, v57, v171                               // 000000007AA4: 0A735739
	v_mul_f32_e64 v54, v54, s6                                 // 000000007AA8: D1050036 00000D36
	v_mul_f32_e64 v55, v55, s6                                 // 000000007AB0: D1050037 00000D37
	v_mul_f32_e64 v56, v56, s6                                 // 000000007AB8: D1050038 00000D38
	v_mul_f32_e64 v57, v57, s6                                 // 000000007AC0: D1050039 00000D39
	v_exp_f32_e32 v54, v54                                     // 000000007AC8: 7E6C4136
	v_exp_f32_e32 v55, v55                                     // 000000007ACC: 7E6E4137
	v_exp_f32_e32 v56, v56                                     // 000000007AD0: 7E704138
	buffer_load_dwordx4 a[84:87], v23, s[12:15], 0 offen offset:1024// 000000007AD4: E05C1400 80835417
	v_exp_f32_e32 v57, v57                                     // 000000007ADC: 7E724139
	v_add_f32_e64 v54, v54, 1.0                                // 000000007AE0: D1010036 0001E536
	v_add_f32_e64 v55, v55, 1.0                                // 000000007AE8: D1010037 0001E537
	v_add_f32_e64 v56, v56, 1.0                                // 000000007AF0: D1010038 0001E538
	v_add_f32_e64 v57, v57, 1.0                                // 000000007AF8: D1010039 0001E539
	v_rcp_f32_e32 v54, v54                                     // 000000007B00: 7E6C4536
	v_rcp_f32_e32 v55, v55                                     // 000000007B04: 7E6E4537
	v_rcp_f32_e32 v56, v56                                     // 000000007B08: 7E704538
	v_rcp_f32_e32 v57, v57                                     // 000000007B0C: 7E724539
	v_mul_f32_e32 v168, v168, v54                              // 000000007B10: 0B506DA8
	v_mul_f32_e32 v169, v169, v55                              // 000000007B14: 0B526FA9
	v_mul_f32_e32 v170, v170, v56                              // 000000007B18: 0B5471AA
	v_mul_f32_e32 v171, v171, v57                              // 000000007B1C: 0B5673AB
	buffer_load_dwordx4 a[88:91], v23, s[12:15], 0 offen offset:2048// 000000007B20: E05C1800 80835817
	v_mul_f32_e32 v54, v172, v172                              // 000000007B28: 0A6D59AC
	v_mul_f32_e32 v55, v173, v173                              // 000000007B2C: 0A6F5BAD
	v_mul_f32_e32 v56, v174, v174                              // 000000007B30: 0A715DAE
	v_mul_f32_e32 v57, v175, v175                              // 000000007B34: 0A735FAF
	v_fma_f32 v54, v54, s77, v5                                // 000000007B38: D1CB0036 04149B36
	v_fma_f32 v55, v55, s77, v5                                // 000000007B40: D1CB0037 04149B37
	v_fma_f32 v56, v56, s77, v5                                // 000000007B48: D1CB0038 04149B38
	v_fma_f32 v57, v57, s77, v5                                // 000000007B50: D1CB0039 04149B39
	v_mul_f32_e32 v54, v54, v172                               // 000000007B58: 0A6D5936
	v_mul_f32_e32 v55, v55, v173                               // 000000007B5C: 0A6F5B37
	v_mul_f32_e32 v56, v56, v174                               // 000000007B60: 0A715D38
	v_mul_f32_e32 v57, v57, v175                               // 000000007B64: 0A735F39
	v_mul_f32_e64 v54, v54, s6                                 // 000000007B68: D1050036 00000D36
	v_mul_f32_e64 v55, v55, s6                                 // 000000007B70: D1050037 00000D37
	v_mul_f32_e64 v56, v56, s6                                 // 000000007B78: D1050038 00000D38
	v_mul_f32_e64 v57, v57, s6                                 // 000000007B80: D1050039 00000D39
	v_exp_f32_e32 v54, v54                                     // 000000007B88: 7E6C4136
	v_exp_f32_e32 v55, v55                                     // 000000007B8C: 7E6E4137
	v_exp_f32_e32 v56, v56                                     // 000000007B90: 7E704138
	buffer_load_dwordx4 a[92:95], v23, s[12:15], 0 offen offset:3072// 000000007B94: E05C1C00 80835C17
	v_exp_f32_e32 v57, v57                                     // 000000007B9C: 7E724139
	v_add_f32_e64 v54, v54, 1.0                                // 000000007BA0: D1010036 0001E536
	v_add_f32_e64 v55, v55, 1.0                                // 000000007BA8: D1010037 0001E537
	v_add_f32_e64 v56, v56, 1.0                                // 000000007BB0: D1010038 0001E538
	v_add_f32_e64 v57, v57, 1.0                                // 000000007BB8: D1010039 0001E539
	v_rcp_f32_e32 v54, v54                                     // 000000007BC0: 7E6C4536
	v_rcp_f32_e32 v55, v55                                     // 000000007BC4: 7E6E4537
	v_rcp_f32_e32 v56, v56                                     // 000000007BC8: 7E704538
	v_rcp_f32_e32 v57, v57                                     // 000000007BCC: 7E724539
	v_mul_f32_e32 v172, v172, v54                              // 000000007BD0: 0B586DAC
	v_mul_f32_e32 v173, v173, v55                              // 000000007BD4: 0B5A6FAD
	v_mul_f32_e32 v174, v174, v56                              // 000000007BD8: 0B5C71AE
	v_mul_f32_e32 v175, v175, v57                              // 000000007BDC: 0B5E73AF
	s_waitcnt vmcnt(24)                                        // 000000007BE0: BF8C4F78
	buffer_load_dwordx4 a[96:99], v24, s[12:15], 0 offen       // 000000007BE4: E05C1000 80836018
	v_mul_f32_e32 v54, v176, v176                              // 000000007BEC: 0A6D61B0
	v_mul_f32_e32 v55, v177, v177                              // 000000007BF0: 0A6F63B1
	v_mul_f32_e32 v56, v178, v178                              // 000000007BF4: 0A7165B2
	v_mul_f32_e32 v57, v179, v179                              // 000000007BF8: 0A7367B3
	v_fma_f32 v54, v54, s77, v5                                // 000000007BFC: D1CB0036 04149B36
	v_fma_f32 v55, v55, s77, v5                                // 000000007C04: D1CB0037 04149B37
	v_fma_f32 v56, v56, s77, v5                                // 000000007C0C: D1CB0038 04149B38
	v_fma_f32 v57, v57, s77, v5                                // 000000007C14: D1CB0039 04149B39
	v_mul_f32_e32 v54, v54, v176                               // 000000007C1C: 0A6D6136
	v_mul_f32_e32 v55, v55, v177                               // 000000007C20: 0A6F6337
	v_mul_f32_e32 v56, v56, v178                               // 000000007C24: 0A716538
	v_mul_f32_e32 v57, v57, v179                               // 000000007C28: 0A736739
	v_mul_f32_e64 v54, v54, s6                                 // 000000007C2C: D1050036 00000D36
	v_mul_f32_e64 v55, v55, s6                                 // 000000007C34: D1050037 00000D37
	v_mul_f32_e64 v56, v56, s6                                 // 000000007C3C: D1050038 00000D38
	v_mul_f32_e64 v57, v57, s6                                 // 000000007C44: D1050039 00000D39
	v_exp_f32_e32 v54, v54                                     // 000000007C4C: 7E6C4136
	v_exp_f32_e32 v55, v55                                     // 000000007C50: 7E6E4137
	v_exp_f32_e32 v56, v56                                     // 000000007C54: 7E704138
	buffer_load_dwordx4 a[100:103], v24, s[12:15], 0 offen offset:1024// 000000007C58: E05C1400 80836418
	v_exp_f32_e32 v57, v57                                     // 000000007C60: 7E724139
	v_add_f32_e64 v54, v54, 1.0                                // 000000007C64: D1010036 0001E536
	v_add_f32_e64 v55, v55, 1.0                                // 000000007C6C: D1010037 0001E537
	v_add_f32_e64 v56, v56, 1.0                                // 000000007C74: D1010038 0001E538
	v_add_f32_e64 v57, v57, 1.0                                // 000000007C7C: D1010039 0001E539
	v_rcp_f32_e32 v54, v54                                     // 000000007C84: 7E6C4536
	v_rcp_f32_e32 v55, v55                                     // 000000007C88: 7E6E4537
	v_rcp_f32_e32 v56, v56                                     // 000000007C8C: 7E704538
	v_rcp_f32_e32 v57, v57                                     // 000000007C90: 7E724539
	v_mul_f32_e32 v176, v176, v54                              // 000000007C94: 0B606DB0
	v_mul_f32_e32 v177, v177, v55                              // 000000007C98: 0B626FB1
	v_mul_f32_e32 v178, v178, v56                              // 000000007C9C: 0B6471B2
	v_mul_f32_e32 v179, v179, v57                              // 000000007CA0: 0B6673B3
	buffer_load_dwordx4 a[104:107], v24, s[12:15], 0 offen offset:2048// 000000007CA4: E05C1800 80836818
	v_mul_f32_e32 v54, v180, v180                              // 000000007CAC: 0A6D69B4
	v_mul_f32_e32 v55, v181, v181                              // 000000007CB0: 0A6F6BB5
	v_mul_f32_e32 v56, v182, v182                              // 000000007CB4: 0A716DB6
	v_mul_f32_e32 v57, v183, v183                              // 000000007CB8: 0A736FB7
	v_fma_f32 v54, v54, s77, v5                                // 000000007CBC: D1CB0036 04149B36
	v_fma_f32 v55, v55, s77, v5                                // 000000007CC4: D1CB0037 04149B37
	v_fma_f32 v56, v56, s77, v5                                // 000000007CCC: D1CB0038 04149B38
	v_fma_f32 v57, v57, s77, v5                                // 000000007CD4: D1CB0039 04149B39
	v_mul_f32_e32 v54, v54, v180                               // 000000007CDC: 0A6D6936
	v_mul_f32_e32 v55, v55, v181                               // 000000007CE0: 0A6F6B37
	v_mul_f32_e32 v56, v56, v182                               // 000000007CE4: 0A716D38
	v_mul_f32_e32 v57, v57, v183                               // 000000007CE8: 0A736F39
	v_mul_f32_e64 v54, v54, s6                                 // 000000007CEC: D1050036 00000D36
	v_mul_f32_e64 v55, v55, s6                                 // 000000007CF4: D1050037 00000D37
	v_mul_f32_e64 v56, v56, s6                                 // 000000007CFC: D1050038 00000D38
	v_mul_f32_e64 v57, v57, s6                                 // 000000007D04: D1050039 00000D39
	v_exp_f32_e32 v54, v54                                     // 000000007D0C: 7E6C4136
	v_exp_f32_e32 v55, v55                                     // 000000007D10: 7E6E4137
	v_exp_f32_e32 v56, v56                                     // 000000007D14: 7E704138
	buffer_load_dwordx4 a[108:111], v24, s[12:15], 0 offen offset:3072// 000000007D18: E05C1C00 80836C18
	v_exp_f32_e32 v57, v57                                     // 000000007D20: 7E724139
	v_add_f32_e64 v54, v54, 1.0                                // 000000007D24: D1010036 0001E536
	v_add_f32_e64 v55, v55, 1.0                                // 000000007D2C: D1010037 0001E537
	v_add_f32_e64 v56, v56, 1.0                                // 000000007D34: D1010038 0001E538
	v_add_f32_e64 v57, v57, 1.0                                // 000000007D3C: D1010039 0001E539
	v_rcp_f32_e32 v54, v54                                     // 000000007D44: 7E6C4536
	v_rcp_f32_e32 v55, v55                                     // 000000007D48: 7E6E4537
	v_rcp_f32_e32 v56, v56                                     // 000000007D4C: 7E704538
	v_rcp_f32_e32 v57, v57                                     // 000000007D50: 7E724539
	v_mul_f32_e32 v180, v180, v54                              // 000000007D54: 0B686DB4
	v_mul_f32_e32 v181, v181, v55                              // 000000007D58: 0B6A6FB5
	v_mul_f32_e32 v182, v182, v56                              // 000000007D5C: 0B6C71B6
	v_mul_f32_e32 v183, v183, v57                              // 000000007D60: 0B6E73B7
	buffer_load_dwordx4 a[112:115], v25, s[12:15], 0 offen     // 000000007D64: E05C1000 80837019
	v_mul_f32_e32 v54, v184, v184                              // 000000007D6C: 0A6D71B8
	v_mul_f32_e32 v55, v185, v185                              // 000000007D70: 0A6F73B9
	v_mul_f32_e32 v56, v186, v186                              // 000000007D74: 0A7175BA
	v_mul_f32_e32 v57, v187, v187                              // 000000007D78: 0A7377BB
	v_fma_f32 v54, v54, s77, v5                                // 000000007D7C: D1CB0036 04149B36
	v_fma_f32 v55, v55, s77, v5                                // 000000007D84: D1CB0037 04149B37
	v_fma_f32 v56, v56, s77, v5                                // 000000007D8C: D1CB0038 04149B38
	v_fma_f32 v57, v57, s77, v5                                // 000000007D94: D1CB0039 04149B39
	v_mul_f32_e32 v54, v54, v184                               // 000000007D9C: 0A6D7136
	v_mul_f32_e32 v55, v55, v185                               // 000000007DA0: 0A6F7337
	v_mul_f32_e32 v56, v56, v186                               // 000000007DA4: 0A717538
	v_mul_f32_e32 v57, v57, v187                               // 000000007DA8: 0A737739
	v_mul_f32_e64 v54, v54, s6                                 // 000000007DAC: D1050036 00000D36
	v_mul_f32_e64 v55, v55, s6                                 // 000000007DB4: D1050037 00000D37
	v_mul_f32_e64 v56, v56, s6                                 // 000000007DBC: D1050038 00000D38
	v_mul_f32_e64 v57, v57, s6                                 // 000000007DC4: D1050039 00000D39
	v_exp_f32_e32 v54, v54                                     // 000000007DCC: 7E6C4136
	v_exp_f32_e32 v55, v55                                     // 000000007DD0: 7E6E4137
	v_exp_f32_e32 v56, v56                                     // 000000007DD4: 7E704138
	buffer_load_dwordx4 a[116:119], v25, s[12:15], 0 offen offset:1024// 000000007DD8: E05C1400 80837419
	v_exp_f32_e32 v57, v57                                     // 000000007DE0: 7E724139
	v_add_f32_e64 v54, v54, 1.0                                // 000000007DE4: D1010036 0001E536
	v_add_f32_e64 v55, v55, 1.0                                // 000000007DEC: D1010037 0001E537
	v_add_f32_e64 v56, v56, 1.0                                // 000000007DF4: D1010038 0001E538
	v_add_f32_e64 v57, v57, 1.0                                // 000000007DFC: D1010039 0001E539
	v_rcp_f32_e32 v54, v54                                     // 000000007E04: 7E6C4536
	v_rcp_f32_e32 v55, v55                                     // 000000007E08: 7E6E4537
	v_rcp_f32_e32 v56, v56                                     // 000000007E0C: 7E704538
	v_rcp_f32_e32 v57, v57                                     // 000000007E10: 7E724539
	v_mul_f32_e32 v184, v184, v54                              // 000000007E14: 0B706DB8
	v_mul_f32_e32 v185, v185, v55                              // 000000007E18: 0B726FB9
	v_mul_f32_e32 v186, v186, v56                              // 000000007E1C: 0B7471BA
	v_mul_f32_e32 v187, v187, v57                              // 000000007E20: 0B7673BB
	buffer_load_dwordx4 a[120:123], v25, s[12:15], 0 offen offset:2048// 000000007E24: E05C1800 80837819
	v_mul_f32_e32 v54, v188, v188                              // 000000007E2C: 0A6D79BC
	v_mul_f32_e32 v55, v189, v189                              // 000000007E30: 0A6F7BBD
	v_mul_f32_e32 v56, v190, v190                              // 000000007E34: 0A717DBE
	v_mul_f32_e32 v57, v191, v191                              // 000000007E38: 0A737FBF
	v_fma_f32 v54, v54, s77, v5                                // 000000007E3C: D1CB0036 04149B36
	v_fma_f32 v55, v55, s77, v5                                // 000000007E44: D1CB0037 04149B37
	v_fma_f32 v56, v56, s77, v5                                // 000000007E4C: D1CB0038 04149B38
	v_fma_f32 v57, v57, s77, v5                                // 000000007E54: D1CB0039 04149B39
	v_mul_f32_e32 v54, v54, v188                               // 000000007E5C: 0A6D7936
	v_mul_f32_e32 v55, v55, v189                               // 000000007E60: 0A6F7B37
	v_mul_f32_e32 v56, v56, v190                               // 000000007E64: 0A717D38
	v_mul_f32_e32 v57, v57, v191                               // 000000007E68: 0A737F39
	v_mul_f32_e64 v54, v54, s6                                 // 000000007E6C: D1050036 00000D36
	v_mul_f32_e64 v55, v55, s6                                 // 000000007E74: D1050037 00000D37
	v_mul_f32_e64 v56, v56, s6                                 // 000000007E7C: D1050038 00000D38
	v_mul_f32_e64 v57, v57, s6                                 // 000000007E84: D1050039 00000D39
	v_exp_f32_e32 v54, v54                                     // 000000007E8C: 7E6C4136
	v_exp_f32_e32 v55, v55                                     // 000000007E90: 7E6E4137
	v_exp_f32_e32 v56, v56                                     // 000000007E94: 7E704138
	buffer_load_dwordx4 a[124:127], v25, s[12:15], 0 offen offset:3072// 000000007E98: E05C1C00 80837C19
	v_exp_f32_e32 v57, v57                                     // 000000007EA0: 7E724139
	v_add_f32_e64 v54, v54, 1.0                                // 000000007EA4: D1010036 0001E536
	v_add_f32_e64 v55, v55, 1.0                                // 000000007EAC: D1010037 0001E537
	v_add_f32_e64 v56, v56, 1.0                                // 000000007EB4: D1010038 0001E538
	v_add_f32_e64 v57, v57, 1.0                                // 000000007EBC: D1010039 0001E539
	v_rcp_f32_e32 v54, v54                                     // 000000007EC4: 7E6C4536
	v_rcp_f32_e32 v55, v55                                     // 000000007EC8: 7E6E4537
	v_rcp_f32_e32 v56, v56                                     // 000000007ECC: 7E704538
	v_rcp_f32_e32 v57, v57                                     // 000000007ED0: 7E724539
	v_mul_f32_e32 v188, v188, v54                              // 000000007ED4: 0B786DBC
	v_mul_f32_e32 v189, v189, v55                              // 000000007ED8: 0B7A6FBD
	v_mul_f32_e32 v190, v190, v56                              // 000000007EDC: 0B7C71BE
	v_mul_f32_e32 v191, v191, v57                              // 000000007EE0: 0B7E73BF
	v_cmp_u_f32_e64 s[34:35], v128, v128                       // 000000007EE4: D0480022 00030180
	v_add3_u32 v50, v128, v53, 1                               // 000000007EEC: D1FF0032 02066B80
	v_cndmask_b32_e64 v54, v50, v52, s[34:35]                  // 000000007EF4: D1000036 008A6932
	v_cmp_u_f32_e64 s[34:35], v129, v129                       // 000000007EFC: D0480022 00030381
	v_add3_u32 v50, v129, v53, 1                               // 000000007F04: D1FF0032 02066B81
	v_cndmask_b32_e64 v55, v50, v52, s[34:35]                  // 000000007F0C: D1000037 008A6932
	v_perm_b32 v128, v55, v54, s52                             // 000000007F14: D1ED0080 00D26D37
	v_cmp_u_f32_e64 s[34:35], v130, v130                       // 000000007F1C: D0480022 00030582
	v_add3_u32 v50, v130, v53, 1                               // 000000007F24: D1FF0032 02066B82
	v_cndmask_b32_e64 v54, v50, v52, s[34:35]                  // 000000007F2C: D1000036 008A6932
	v_cmp_u_f32_e64 s[34:35], v131, v131                       // 000000007F34: D0480022 00030783
	v_add3_u32 v50, v131, v53, 1                               // 000000007F3C: D1FF0032 02066B83
	v_cndmask_b32_e64 v55, v50, v52, s[34:35]                  // 000000007F44: D1000037 008A6932
	v_perm_b32 v129, v55, v54, s52                             // 000000007F4C: D1ED0081 00D26D37
	v_cmp_u_f32_e64 s[34:35], v132, v132                       // 000000007F54: D0480022 00030984
	v_add3_u32 v50, v132, v53, 1                               // 000000007F5C: D1FF0032 02066B84
	v_cndmask_b32_e64 v54, v50, v52, s[34:35]                  // 000000007F64: D1000036 008A6932
	v_cmp_u_f32_e64 s[34:35], v133, v133                       // 000000007F6C: D0480022 00030B85
	v_add3_u32 v50, v133, v53, 1                               // 000000007F74: D1FF0032 02066B85
	v_cndmask_b32_e64 v55, v50, v52, s[34:35]                  // 000000007F7C: D1000037 008A6932
	v_perm_b32 v130, v55, v54, s52                             // 000000007F84: D1ED0082 00D26D37
	v_cmp_u_f32_e64 s[34:35], v134, v134                       // 000000007F8C: D0480022 00030D86
	v_add3_u32 v50, v134, v53, 1                               // 000000007F94: D1FF0032 02066B86
	v_cndmask_b32_e64 v54, v50, v52, s[34:35]                  // 000000007F9C: D1000036 008A6932
	v_cmp_u_f32_e64 s[34:35], v135, v135                       // 000000007FA4: D0480022 00030F87
	v_add3_u32 v50, v135, v53, 1                               // 000000007FAC: D1FF0032 02066B87
	v_cndmask_b32_e64 v55, v50, v52, s[34:35]                  // 000000007FB4: D1000037 008A6932
	v_perm_b32 v131, v55, v54, s52                             // 000000007FBC: D1ED0083 00D26D37
	v_cmp_u_f32_e64 s[34:35], v136, v136                       // 000000007FC4: D0480022 00031188
	v_add3_u32 v50, v136, v53, 1                               // 000000007FCC: D1FF0032 02066B88
	v_cndmask_b32_e64 v54, v50, v52, s[34:35]                  // 000000007FD4: D1000036 008A6932
	v_cmp_u_f32_e64 s[34:35], v137, v137                       // 000000007FDC: D0480022 00031389
	v_add3_u32 v50, v137, v53, 1                               // 000000007FE4: D1FF0032 02066B89
	v_cndmask_b32_e64 v55, v50, v52, s[34:35]                  // 000000007FEC: D1000037 008A6932
	v_perm_b32 v132, v55, v54, s52                             // 000000007FF4: D1ED0084 00D26D37
	v_cmp_u_f32_e64 s[34:35], v138, v138                       // 000000007FFC: D0480022 0003158A
	v_add3_u32 v50, v138, v53, 1                               // 000000008004: D1FF0032 02066B8A
	v_cndmask_b32_e64 v54, v50, v52, s[34:35]                  // 00000000800C: D1000036 008A6932
	v_cmp_u_f32_e64 s[34:35], v139, v139                       // 000000008014: D0480022 0003178B
	v_add3_u32 v50, v139, v53, 1                               // 00000000801C: D1FF0032 02066B8B
	v_cndmask_b32_e64 v55, v50, v52, s[34:35]                  // 000000008024: D1000037 008A6932
	v_perm_b32 v133, v55, v54, s52                             // 00000000802C: D1ED0085 00D26D37
	v_cmp_u_f32_e64 s[34:35], v140, v140                       // 000000008034: D0480022 0003198C
	v_add3_u32 v50, v140, v53, 1                               // 00000000803C: D1FF0032 02066B8C
	v_cndmask_b32_e64 v54, v50, v52, s[34:35]                  // 000000008044: D1000036 008A6932
	v_cmp_u_f32_e64 s[34:35], v141, v141                       // 00000000804C: D0480022 00031B8D
	v_add3_u32 v50, v141, v53, 1                               // 000000008054: D1FF0032 02066B8D
	v_cndmask_b32_e64 v55, v50, v52, s[34:35]                  // 00000000805C: D1000037 008A6932
	v_perm_b32 v134, v55, v54, s52                             // 000000008064: D1ED0086 00D26D37
	v_cmp_u_f32_e64 s[34:35], v142, v142                       // 00000000806C: D0480022 00031D8E
	v_add3_u32 v50, v142, v53, 1                               // 000000008074: D1FF0032 02066B8E
	v_cndmask_b32_e64 v54, v50, v52, s[34:35]                  // 00000000807C: D1000036 008A6932
	v_cmp_u_f32_e64 s[34:35], v143, v143                       // 000000008084: D0480022 00031F8F
	v_add3_u32 v50, v143, v53, 1                               // 00000000808C: D1FF0032 02066B8F
	v_cndmask_b32_e64 v55, v50, v52, s[34:35]                  // 000000008094: D1000037 008A6932
	v_perm_b32 v135, v55, v54, s52                             // 00000000809C: D1ED0087 00D26D37
	v_cmp_u_f32_e64 s[34:35], v144, v144                       // 0000000080A4: D0480022 00032190
	v_add3_u32 v50, v144, v53, 1                               // 0000000080AC: D1FF0032 02066B90
	v_cndmask_b32_e64 v54, v50, v52, s[34:35]                  // 0000000080B4: D1000036 008A6932
	v_cmp_u_f32_e64 s[34:35], v145, v145                       // 0000000080BC: D0480022 00032391
	v_add3_u32 v50, v145, v53, 1                               // 0000000080C4: D1FF0032 02066B91
	v_cndmask_b32_e64 v55, v50, v52, s[34:35]                  // 0000000080CC: D1000037 008A6932
	v_perm_b32 v136, v55, v54, s52                             // 0000000080D4: D1ED0088 00D26D37
	v_cmp_u_f32_e64 s[34:35], v146, v146                       // 0000000080DC: D0480022 00032592
	v_add3_u32 v50, v146, v53, 1                               // 0000000080E4: D1FF0032 02066B92
	v_cndmask_b32_e64 v54, v50, v52, s[34:35]                  // 0000000080EC: D1000036 008A6932
	v_cmp_u_f32_e64 s[34:35], v147, v147                       // 0000000080F4: D0480022 00032793
	v_add3_u32 v50, v147, v53, 1                               // 0000000080FC: D1FF0032 02066B93
	v_cndmask_b32_e64 v55, v50, v52, s[34:35]                  // 000000008104: D1000037 008A6932
	v_perm_b32 v137, v55, v54, s52                             // 00000000810C: D1ED0089 00D26D37
	v_cmp_u_f32_e64 s[34:35], v148, v148                       // 000000008114: D0480022 00032994
	v_add3_u32 v50, v148, v53, 1                               // 00000000811C: D1FF0032 02066B94
	v_cndmask_b32_e64 v54, v50, v52, s[34:35]                  // 000000008124: D1000036 008A6932
	v_cmp_u_f32_e64 s[34:35], v149, v149                       // 00000000812C: D0480022 00032B95
	v_add3_u32 v50, v149, v53, 1                               // 000000008134: D1FF0032 02066B95
	v_cndmask_b32_e64 v55, v50, v52, s[34:35]                  // 00000000813C: D1000037 008A6932
	v_perm_b32 v138, v55, v54, s52                             // 000000008144: D1ED008A 00D26D37
	v_cmp_u_f32_e64 s[34:35], v150, v150                       // 00000000814C: D0480022 00032D96
	v_add3_u32 v50, v150, v53, 1                               // 000000008154: D1FF0032 02066B96
	v_cndmask_b32_e64 v54, v50, v52, s[34:35]                  // 00000000815C: D1000036 008A6932
	v_cmp_u_f32_e64 s[34:35], v151, v151                       // 000000008164: D0480022 00032F97
	v_add3_u32 v50, v151, v53, 1                               // 00000000816C: D1FF0032 02066B97
	v_cndmask_b32_e64 v55, v50, v52, s[34:35]                  // 000000008174: D1000037 008A6932
	v_perm_b32 v139, v55, v54, s52                             // 00000000817C: D1ED008B 00D26D37
	v_cmp_u_f32_e64 s[34:35], v152, v152                       // 000000008184: D0480022 00033198
	v_add3_u32 v50, v152, v53, 1                               // 00000000818C: D1FF0032 02066B98
	v_cndmask_b32_e64 v54, v50, v52, s[34:35]                  // 000000008194: D1000036 008A6932
	v_cmp_u_f32_e64 s[34:35], v153, v153                       // 00000000819C: D0480022 00033399
	v_add3_u32 v50, v153, v53, 1                               // 0000000081A4: D1FF0032 02066B99
	v_cndmask_b32_e64 v55, v50, v52, s[34:35]                  // 0000000081AC: D1000037 008A6932
	v_perm_b32 v140, v55, v54, s52                             // 0000000081B4: D1ED008C 00D26D37
	v_cmp_u_f32_e64 s[34:35], v154, v154                       // 0000000081BC: D0480022 0003359A
	v_add3_u32 v50, v154, v53, 1                               // 0000000081C4: D1FF0032 02066B9A
	v_cndmask_b32_e64 v54, v50, v52, s[34:35]                  // 0000000081CC: D1000036 008A6932
	v_cmp_u_f32_e64 s[34:35], v155, v155                       // 0000000081D4: D0480022 0003379B
	v_add3_u32 v50, v155, v53, 1                               // 0000000081DC: D1FF0032 02066B9B
	v_cndmask_b32_e64 v55, v50, v52, s[34:35]                  // 0000000081E4: D1000037 008A6932
	v_perm_b32 v141, v55, v54, s52                             // 0000000081EC: D1ED008D 00D26D37
	v_cmp_u_f32_e64 s[34:35], v156, v156                       // 0000000081F4: D0480022 0003399C
	v_add3_u32 v50, v156, v53, 1                               // 0000000081FC: D1FF0032 02066B9C
	v_cndmask_b32_e64 v54, v50, v52, s[34:35]                  // 000000008204: D1000036 008A6932
	v_cmp_u_f32_e64 s[34:35], v157, v157                       // 00000000820C: D0480022 00033B9D
	v_add3_u32 v50, v157, v53, 1                               // 000000008214: D1FF0032 02066B9D
	v_cndmask_b32_e64 v55, v50, v52, s[34:35]                  // 00000000821C: D1000037 008A6932
	v_perm_b32 v142, v55, v54, s52                             // 000000008224: D1ED008E 00D26D37
	v_cmp_u_f32_e64 s[34:35], v158, v158                       // 00000000822C: D0480022 00033D9E
	v_add3_u32 v50, v158, v53, 1                               // 000000008234: D1FF0032 02066B9E
	v_cndmask_b32_e64 v54, v50, v52, s[34:35]                  // 00000000823C: D1000036 008A6932
	v_cmp_u_f32_e64 s[34:35], v159, v159                       // 000000008244: D0480022 00033F9F
	v_add3_u32 v50, v159, v53, 1                               // 00000000824C: D1FF0032 02066B9F
	v_cndmask_b32_e64 v55, v50, v52, s[34:35]                  // 000000008254: D1000037 008A6932
	v_perm_b32 v143, v55, v54, s52                             // 00000000825C: D1ED008F 00D26D37
	v_cmp_u_f32_e64 s[34:35], v160, v160                       // 000000008264: D0480022 000341A0
	v_add3_u32 v50, v160, v53, 1                               // 00000000826C: D1FF0032 02066BA0
	v_cndmask_b32_e64 v54, v50, v52, s[34:35]                  // 000000008274: D1000036 008A6932
	v_cmp_u_f32_e64 s[34:35], v161, v161                       // 00000000827C: D0480022 000343A1
	v_add3_u32 v50, v161, v53, 1                               // 000000008284: D1FF0032 02066BA1
	v_cndmask_b32_e64 v55, v50, v52, s[34:35]                  // 00000000828C: D1000037 008A6932
	v_perm_b32 v144, v55, v54, s52                             // 000000008294: D1ED0090 00D26D37
	v_cmp_u_f32_e64 s[34:35], v162, v162                       // 00000000829C: D0480022 000345A2
	v_add3_u32 v50, v162, v53, 1                               // 0000000082A4: D1FF0032 02066BA2
	v_cndmask_b32_e64 v54, v50, v52, s[34:35]                  // 0000000082AC: D1000036 008A6932
	v_cmp_u_f32_e64 s[34:35], v163, v163                       // 0000000082B4: D0480022 000347A3
	v_add3_u32 v50, v163, v53, 1                               // 0000000082BC: D1FF0032 02066BA3
	v_cndmask_b32_e64 v55, v50, v52, s[34:35]                  // 0000000082C4: D1000037 008A6932
	v_perm_b32 v145, v55, v54, s52                             // 0000000082CC: D1ED0091 00D26D37
	v_cmp_u_f32_e64 s[34:35], v164, v164                       // 0000000082D4: D0480022 000349A4
	v_add3_u32 v50, v164, v53, 1                               // 0000000082DC: D1FF0032 02066BA4
	v_cndmask_b32_e64 v54, v50, v52, s[34:35]                  // 0000000082E4: D1000036 008A6932
	v_cmp_u_f32_e64 s[34:35], v165, v165                       // 0000000082EC: D0480022 00034BA5
	v_add3_u32 v50, v165, v53, 1                               // 0000000082F4: D1FF0032 02066BA5
	v_cndmask_b32_e64 v55, v50, v52, s[34:35]                  // 0000000082FC: D1000037 008A6932
	v_perm_b32 v146, v55, v54, s52                             // 000000008304: D1ED0092 00D26D37
	v_cmp_u_f32_e64 s[34:35], v166, v166                       // 00000000830C: D0480022 00034DA6
	v_add3_u32 v50, v166, v53, 1                               // 000000008314: D1FF0032 02066BA6
	v_cndmask_b32_e64 v54, v50, v52, s[34:35]                  // 00000000831C: D1000036 008A6932
	v_cmp_u_f32_e64 s[34:35], v167, v167                       // 000000008324: D0480022 00034FA7
	v_add3_u32 v50, v167, v53, 1                               // 00000000832C: D1FF0032 02066BA7
	v_cndmask_b32_e64 v55, v50, v52, s[34:35]                  // 000000008334: D1000037 008A6932
	v_perm_b32 v147, v55, v54, s52                             // 00000000833C: D1ED0093 00D26D37
	v_cmp_u_f32_e64 s[34:35], v168, v168                       // 000000008344: D0480022 000351A8
	v_add3_u32 v50, v168, v53, 1                               // 00000000834C: D1FF0032 02066BA8
	v_cndmask_b32_e64 v54, v50, v52, s[34:35]                  // 000000008354: D1000036 008A6932
	v_cmp_u_f32_e64 s[34:35], v169, v169                       // 00000000835C: D0480022 000353A9
	v_add3_u32 v50, v169, v53, 1                               // 000000008364: D1FF0032 02066BA9
	v_cndmask_b32_e64 v55, v50, v52, s[34:35]                  // 00000000836C: D1000037 008A6932
	v_perm_b32 v148, v55, v54, s52                             // 000000008374: D1ED0094 00D26D37
	v_cmp_u_f32_e64 s[34:35], v170, v170                       // 00000000837C: D0480022 000355AA
	v_add3_u32 v50, v170, v53, 1                               // 000000008384: D1FF0032 02066BAA
	v_cndmask_b32_e64 v54, v50, v52, s[34:35]                  // 00000000838C: D1000036 008A6932
	v_cmp_u_f32_e64 s[34:35], v171, v171                       // 000000008394: D0480022 000357AB
	v_add3_u32 v50, v171, v53, 1                               // 00000000839C: D1FF0032 02066BAB
	v_cndmask_b32_e64 v55, v50, v52, s[34:35]                  // 0000000083A4: D1000037 008A6932
	v_perm_b32 v149, v55, v54, s52                             // 0000000083AC: D1ED0095 00D26D37
	v_cmp_u_f32_e64 s[34:35], v172, v172                       // 0000000083B4: D0480022 000359AC
	v_add3_u32 v50, v172, v53, 1                               // 0000000083BC: D1FF0032 02066BAC
	v_cndmask_b32_e64 v54, v50, v52, s[34:35]                  // 0000000083C4: D1000036 008A6932
	v_cmp_u_f32_e64 s[34:35], v173, v173                       // 0000000083CC: D0480022 00035BAD
	v_add3_u32 v50, v173, v53, 1                               // 0000000083D4: D1FF0032 02066BAD
	v_cndmask_b32_e64 v55, v50, v52, s[34:35]                  // 0000000083DC: D1000037 008A6932
	v_perm_b32 v150, v55, v54, s52                             // 0000000083E4: D1ED0096 00D26D37
	v_cmp_u_f32_e64 s[34:35], v174, v174                       // 0000000083EC: D0480022 00035DAE
	v_add3_u32 v50, v174, v53, 1                               // 0000000083F4: D1FF0032 02066BAE
	v_cndmask_b32_e64 v54, v50, v52, s[34:35]                  // 0000000083FC: D1000036 008A6932
	v_cmp_u_f32_e64 s[34:35], v175, v175                       // 000000008404: D0480022 00035FAF
	v_add3_u32 v50, v175, v53, 1                               // 00000000840C: D1FF0032 02066BAF
	v_cndmask_b32_e64 v55, v50, v52, s[34:35]                  // 000000008414: D1000037 008A6932
	v_perm_b32 v151, v55, v54, s52                             // 00000000841C: D1ED0097 00D26D37
	v_cmp_u_f32_e64 s[34:35], v176, v176                       // 000000008424: D0480022 000361B0
	v_add3_u32 v50, v176, v53, 1                               // 00000000842C: D1FF0032 02066BB0
	v_cndmask_b32_e64 v54, v50, v52, s[34:35]                  // 000000008434: D1000036 008A6932
	v_cmp_u_f32_e64 s[34:35], v177, v177                       // 00000000843C: D0480022 000363B1
	v_add3_u32 v50, v177, v53, 1                               // 000000008444: D1FF0032 02066BB1
	v_cndmask_b32_e64 v55, v50, v52, s[34:35]                  // 00000000844C: D1000037 008A6932
	v_perm_b32 v152, v55, v54, s52                             // 000000008454: D1ED0098 00D26D37
	v_cmp_u_f32_e64 s[34:35], v178, v178                       // 00000000845C: D0480022 000365B2
	v_add3_u32 v50, v178, v53, 1                               // 000000008464: D1FF0032 02066BB2
	v_cndmask_b32_e64 v54, v50, v52, s[34:35]                  // 00000000846C: D1000036 008A6932
	v_cmp_u_f32_e64 s[34:35], v179, v179                       // 000000008474: D0480022 000367B3
	v_add3_u32 v50, v179, v53, 1                               // 00000000847C: D1FF0032 02066BB3
	v_cndmask_b32_e64 v55, v50, v52, s[34:35]                  // 000000008484: D1000037 008A6932
	v_perm_b32 v153, v55, v54, s52                             // 00000000848C: D1ED0099 00D26D37
	v_cmp_u_f32_e64 s[34:35], v180, v180                       // 000000008494: D0480022 000369B4
	v_add3_u32 v50, v180, v53, 1                               // 00000000849C: D1FF0032 02066BB4
	v_cndmask_b32_e64 v54, v50, v52, s[34:35]                  // 0000000084A4: D1000036 008A6932
	v_cmp_u_f32_e64 s[34:35], v181, v181                       // 0000000084AC: D0480022 00036BB5
	v_add3_u32 v50, v181, v53, 1                               // 0000000084B4: D1FF0032 02066BB5
	v_cndmask_b32_e64 v55, v50, v52, s[34:35]                  // 0000000084BC: D1000037 008A6932
	v_perm_b32 v154, v55, v54, s52                             // 0000000084C4: D1ED009A 00D26D37
	v_cmp_u_f32_e64 s[34:35], v182, v182                       // 0000000084CC: D0480022 00036DB6
	v_add3_u32 v50, v182, v53, 1                               // 0000000084D4: D1FF0032 02066BB6
	v_cndmask_b32_e64 v54, v50, v52, s[34:35]                  // 0000000084DC: D1000036 008A6932
	v_cmp_u_f32_e64 s[34:35], v183, v183                       // 0000000084E4: D0480022 00036FB7
	v_add3_u32 v50, v183, v53, 1                               // 0000000084EC: D1FF0032 02066BB7
	v_cndmask_b32_e64 v55, v50, v52, s[34:35]                  // 0000000084F4: D1000037 008A6932
	v_perm_b32 v155, v55, v54, s52                             // 0000000084FC: D1ED009B 00D26D37
	v_cmp_u_f32_e64 s[34:35], v184, v184                       // 000000008504: D0480022 000371B8
	v_add3_u32 v50, v184, v53, 1                               // 00000000850C: D1FF0032 02066BB8
	v_cndmask_b32_e64 v54, v50, v52, s[34:35]                  // 000000008514: D1000036 008A6932
	v_cmp_u_f32_e64 s[34:35], v185, v185                       // 00000000851C: D0480022 000373B9
	v_add3_u32 v50, v185, v53, 1                               // 000000008524: D1FF0032 02066BB9
	v_cndmask_b32_e64 v55, v50, v52, s[34:35]                  // 00000000852C: D1000037 008A6932
	v_perm_b32 v156, v55, v54, s52                             // 000000008534: D1ED009C 00D26D37
	v_cmp_u_f32_e64 s[34:35], v186, v186                       // 00000000853C: D0480022 000375BA
	v_add3_u32 v50, v186, v53, 1                               // 000000008544: D1FF0032 02066BBA
	v_cndmask_b32_e64 v54, v50, v52, s[34:35]                  // 00000000854C: D1000036 008A6932
	v_cmp_u_f32_e64 s[34:35], v187, v187                       // 000000008554: D0480022 000377BB
	v_add3_u32 v50, v187, v53, 1                               // 00000000855C: D1FF0032 02066BBB
	v_cndmask_b32_e64 v55, v50, v52, s[34:35]                  // 000000008564: D1000037 008A6932
	v_perm_b32 v157, v55, v54, s52                             // 00000000856C: D1ED009D 00D26D37
	v_cmp_u_f32_e64 s[34:35], v188, v188                       // 000000008574: D0480022 000379BC
	v_add3_u32 v50, v188, v53, 1                               // 00000000857C: D1FF0032 02066BBC
	v_cndmask_b32_e64 v54, v50, v52, s[34:35]                  // 000000008584: D1000036 008A6932
	v_cmp_u_f32_e64 s[34:35], v189, v189                       // 00000000858C: D0480022 00037BBD
	v_add3_u32 v50, v189, v53, 1                               // 000000008594: D1FF0032 02066BBD
	v_cndmask_b32_e64 v55, v50, v52, s[34:35]                  // 00000000859C: D1000037 008A6932
	v_perm_b32 v158, v55, v54, s52                             // 0000000085A4: D1ED009E 00D26D37
	v_cmp_u_f32_e64 s[34:35], v190, v190                       // 0000000085AC: D0480022 00037DBE
	v_add3_u32 v50, v190, v53, 1                               // 0000000085B4: D1FF0032 02066BBE
	v_cndmask_b32_e64 v54, v50, v52, s[34:35]                  // 0000000085BC: D1000036 008A6932
	v_cmp_u_f32_e64 s[34:35], v191, v191                       // 0000000085C4: D0480022 00037FBF
	v_add3_u32 v50, v191, v53, 1                               // 0000000085CC: D1FF0032 02066BBF
	v_cndmask_b32_e64 v55, v50, v52, s[34:35]                  // 0000000085D4: D1000037 008A6932
	v_perm_b32 v159, v55, v54, s52                             // 0000000085DC: D1ED009F 00D26D37
	v_lshlrev_b32_e32 v54, 3, v0                               // 0000000085E4: 246C0083
	s_mul_i32 s60, 0x200, s7                                   // 0000000085E8: 923C07FF 00000200
	v_add_u32_e64 v54, v54, s60                                // 0000000085F0: D1340036 00007936
	ds_write_b64 v54, v[128:129] offset:16640                  // 0000000085F8: D89A4100 00008036
	ds_write_b64 v54, v[130:131] offset:33024                  // 000000008600: D89A8100 00008236
	ds_write_b64 v54, v[132:133] offset:18688                  // 000000008608: D89A4900 00008436
	ds_write_b64 v54, v[134:135] offset:35072                  // 000000008610: D89A8900 00008636
	ds_write_b64 v54, v[136:137] offset:20736                  // 000000008618: D89A5100 00008836
	ds_write_b64 v54, v[138:139] offset:37120                  // 000000008620: D89A9100 00008A36
	ds_write_b64 v54, v[140:141] offset:22784                  // 000000008628: D89A5900 00008C36
	ds_write_b64 v54, v[142:143] offset:39168                  // 000000008630: D89A9900 00008E36
	ds_write_b64 v54, v[144:145] offset:24832                  // 000000008638: D89A6100 00009036
	ds_write_b64 v54, v[146:147] offset:41216                  // 000000008640: D89AA100 00009236
	ds_write_b64 v54, v[148:149] offset:26880                  // 000000008648: D89A6900 00009436
	ds_write_b64 v54, v[150:151] offset:43264                  // 000000008650: D89AA900 00009636
	ds_write_b64 v54, v[152:153] offset:28928                  // 000000008658: D89A7100 00009836
	ds_write_b64 v54, v[154:155] offset:45312                  // 000000008660: D89AB100 00009A36
	ds_write_b64 v54, v[156:157] offset:30976                  // 000000008668: D89A7900 00009C36
	ds_write_b64 v54, v[158:159] offset:47360                  // 000000008670: D89AB900 00009E36
	s_waitcnt lgkmcnt(0)                                       // 000000008678: BF8CC07F
	s_barrier                                                  // 00000000867C: BF8A0000
	v_lshrrev_b32_e32 v54, 4, v0                               // 000000008680: 206C0084
	v_lshlrev_b32_e32 v55, 6, v54                              // 000000008684: 246E6C86
	v_and_b32_e32 v54, 15, v0                                  // 000000008688: 266C008F
	v_lshlrev_b32_e32 v54, 1, v54                              // 00000000868C: 246C6C81
	v_add_u32_e32 v55, v54, v55                                // 000000008690: 686E6F36
	v_lshlrev_b32_e32 v54, 2, v55                              // 000000008694: 246C6E82
	ds_read_b64 v[128:129], v54 offset:16640                   // 000000008698: D8EC4100 80000036
	ds_read_b64 v[130:131], v54 offset:16768                   // 0000000086A0: D8EC4180 82000036
	ds_read_b64 v[132:133], v54 offset:17664                   // 0000000086A8: D8EC4500 84000036
	ds_read_b64 v[134:135], v54 offset:17792                   // 0000000086B0: D8EC4580 86000036
	ds_read_b64 v[136:137], v54 offset:18688                   // 0000000086B8: D8EC4900 88000036
	ds_read_b64 v[138:139], v54 offset:18816                   // 0000000086C0: D8EC4980 8A000036
	ds_read_b64 v[140:141], v54 offset:19712                   // 0000000086C8: D8EC4D00 8C000036
	ds_read_b64 v[142:143], v54 offset:19840                   // 0000000086D0: D8EC4D80 8E000036
	ds_read_b64 v[144:145], v54 offset:20736                   // 0000000086D8: D8EC5100 90000036
	ds_read_b64 v[146:147], v54 offset:20864                   // 0000000086E0: D8EC5180 92000036
	ds_read_b64 v[148:149], v54 offset:21760                   // 0000000086E8: D8EC5500 94000036
	ds_read_b64 v[150:151], v54 offset:21888                   // 0000000086F0: D8EC5580 96000036
	ds_read_b64 v[152:153], v54 offset:22784                   // 0000000086F8: D8EC5900 98000036
	ds_read_b64 v[154:155], v54 offset:22912                   // 000000008700: D8EC5980 9A000036
	ds_read_b64 v[156:157], v54 offset:23808                   // 000000008708: D8EC5D00 9C000036
	ds_read_b64 v[158:159], v54 offset:23936                   // 000000008710: D8EC5D80 9E000036
	ds_read_b64 v[160:161], v54 offset:24832                   // 000000008718: D8EC6100 A0000036
	ds_read_b64 v[162:163], v54 offset:24960                   // 000000008720: D8EC6180 A2000036
	ds_read_b64 v[164:165], v54 offset:25856                   // 000000008728: D8EC6500 A4000036
	ds_read_b64 v[166:167], v54 offset:25984                   // 000000008730: D8EC6580 A6000036
	ds_read_b64 v[168:169], v54 offset:26880                   // 000000008738: D8EC6900 A8000036
	ds_read_b64 v[170:171], v54 offset:27008                   // 000000008740: D8EC6980 AA000036
	ds_read_b64 v[172:173], v54 offset:27904                   // 000000008748: D8EC6D00 AC000036
	ds_read_b64 v[174:175], v54 offset:28032                   // 000000008750: D8EC6D80 AE000036
	ds_read_b64 v[176:177], v54 offset:28928                   // 000000008758: D8EC7100 B0000036
	ds_read_b64 v[178:179], v54 offset:29056                   // 000000008760: D8EC7180 B2000036
	ds_read_b64 v[180:181], v54 offset:29952                   // 000000008768: D8EC7500 B4000036
	ds_read_b64 v[182:183], v54 offset:30080                   // 000000008770: D8EC7580 B6000036
	ds_read_b64 v[184:185], v54 offset:30976                   // 000000008778: D8EC7900 B8000036
	ds_read_b64 v[186:187], v54 offset:31104                   // 000000008780: D8EC7980 BA000036
	ds_read_b64 v[188:189], v54 offset:32000                   // 000000008788: D8EC7D00 BC000036
	ds_read_b64 v[190:191], v54 offset:32128                   // 000000008790: D8EC7D80 BE000036
	ds_read_b64 v[192:193], v54 offset:33024                   // 000000008798: D8EC8100 C0000036
	ds_read_b64 v[194:195], v54 offset:33152                   // 0000000087A0: D8EC8180 C2000036
	ds_read_b64 v[196:197], v54 offset:34048                   // 0000000087A8: D8EC8500 C4000036
	ds_read_b64 v[198:199], v54 offset:34176                   // 0000000087B0: D8EC8580 C6000036
	ds_read_b64 v[200:201], v54 offset:35072                   // 0000000087B8: D8EC8900 C8000036
	ds_read_b64 v[202:203], v54 offset:35200                   // 0000000087C0: D8EC8980 CA000036
	ds_read_b64 v[204:205], v54 offset:36096                   // 0000000087C8: D8EC8D00 CC000036
	ds_read_b64 v[206:207], v54 offset:36224                   // 0000000087D0: D8EC8D80 CE000036
	ds_read_b64 v[208:209], v54 offset:37120                   // 0000000087D8: D8EC9100 D0000036
	ds_read_b64 v[210:211], v54 offset:37248                   // 0000000087E0: D8EC9180 D2000036
	ds_read_b64 v[212:213], v54 offset:38144                   // 0000000087E8: D8EC9500 D4000036
	ds_read_b64 v[214:215], v54 offset:38272                   // 0000000087F0: D8EC9580 D6000036
	ds_read_b64 v[216:217], v54 offset:39168                   // 0000000087F8: D8EC9900 D8000036
	ds_read_b64 v[218:219], v54 offset:39296                   // 000000008800: D8EC9980 DA000036
	ds_read_b64 v[220:221], v54 offset:40192                   // 000000008808: D8EC9D00 DC000036
	ds_read_b64 v[222:223], v54 offset:40320                   // 000000008810: D8EC9D80 DE000036
	ds_read_b64 v[224:225], v54 offset:41216                   // 000000008818: D8ECA100 E0000036
	ds_read_b64 v[226:227], v54 offset:41344                   // 000000008820: D8ECA180 E2000036
	ds_read_b64 v[228:229], v54 offset:42240                   // 000000008828: D8ECA500 E4000036
	ds_read_b64 v[230:231], v54 offset:42368                   // 000000008830: D8ECA580 E6000036
	ds_read_b64 v[232:233], v54 offset:43264                   // 000000008838: D8ECA900 E8000036
	ds_read_b64 v[234:235], v54 offset:43392                   // 000000008840: D8ECA980 EA000036
	ds_read_b64 v[236:237], v54 offset:44288                   // 000000008848: D8ECAD00 EC000036
	ds_read_b64 v[238:239], v54 offset:44416                   // 000000008850: D8ECAD80 EE000036
	ds_read_b64 v[240:241], v54 offset:45312                   // 000000008858: D8ECB100 F0000036
	ds_read_b64 v[242:243], v54 offset:45440                   // 000000008860: D8ECB180 F2000036
	ds_read_b64 v[244:245], v54 offset:46336                   // 000000008868: D8ECB500 F4000036
	ds_read_b64 v[246:247], v54 offset:46464                   // 000000008870: D8ECB580 F6000036
	ds_read_b64 v[248:249], v54 offset:47360                   // 000000008878: D8ECB900 F8000036
	ds_read_b64 v[250:251], v54 offset:47488                   // 000000008880: D8ECB980 FA000036
	ds_read_b64 v[252:253], v54 offset:48384                   // 000000008888: D8ECBD00 FC000036
	ds_read_b64 v[254:255], v54 offset:48512                   // 000000008890: D8ECBD80 FE000036
	s_add_u32 s12, s56, s12                                    // 000000008898: 800C0C38
	s_addc_u32 s13, 0, s13                                     // 00000000889C: 820D0D80
	v_mov_b32_e32 v64, 0                                       // 0000000088A0: 7E800280
	v_mov_b32_e32 v80, 0                                       // 0000000088A4: 7EA00280
	v_mov_b32_e32 v65, 0                                       // 0000000088A8: 7E820280
	v_mov_b32_e32 v81, 0                                       // 0000000088AC: 7EA20280
	v_mov_b32_e32 v66, 0                                       // 0000000088B0: 7E840280
	v_mov_b32_e32 v82, 0                                       // 0000000088B4: 7EA40280
	v_mov_b32_e32 v67, 0                                       // 0000000088B8: 7E860280
	v_mov_b32_e32 v83, 0                                       // 0000000088BC: 7EA60280
	v_mov_b32_e32 v68, 0                                       // 0000000088C0: 7E880280
	v_mov_b32_e32 v84, 0                                       // 0000000088C4: 7EA80280
	v_mov_b32_e32 v69, 0                                       // 0000000088C8: 7E8A0280
	v_mov_b32_e32 v85, 0                                       // 0000000088CC: 7EAA0280
	v_mov_b32_e32 v70, 0                                       // 0000000088D0: 7E8C0280
	v_mov_b32_e32 v86, 0                                       // 0000000088D4: 7EAC0280
	v_mov_b32_e32 v71, 0                                       // 0000000088D8: 7E8E0280
	v_mov_b32_e32 v87, 0                                       // 0000000088DC: 7EAE0280
	ds_write_b64 v3, v[64:65] offset:16640                     // 0000000088E0: D89A4100 00004003
	ds_write_b64 v3, v[66:67] offset:20992                     // 0000000088E8: D89A5200 00004203
	ds_write_b64 v3, v[68:69] offset:18816                     // 0000000088F0: D89A4980 00004403
	ds_write_b64 v3, v[70:71] offset:23168                     // 0000000088F8: D89A5A80 00004603
	s_mov_b32 s80, 0                                           // 000000008900: BED00080
	s_waitcnt vmcnt(24)                                        // 000000008904: BF8C4F78

0000000000008908 <label_1782>:
	s_waitcnt vmcnt(30) lgkmcnt(0)                             // 000000008908: BF8C407E
	s_barrier                                                  // 00000000890C: BF8A0000
	v_mfma_f32_16x16x16_bf16 v[64:67], a[0:1], v[128:129], 0   // 000000008910: D3E10040 0A030100
	buffer_load_dwordx4 a[128:131], v18, s[12:15], 0 offen     // 000000008918: E05C1000 80838012
	v_mfma_f32_16x16x16_bf16 v[64:67], a[2:3], v[130:131], v[64:67]// 000000008920: D3E10040 0D030502
	ds_read_b32 v10, v4 offset:16640                           // 000000008928: D86C4100 0A000004
	ds_read_b32 v11, v4 offset:16672                           // 000000008930: D86C4120 0B000004
	v_mfma_f32_16x16x16_bf16 v[64:67], a[4:5], v[132:133], v[64:67]// 000000008938: D3E10040 0D030904
	v_mfma_f32_16x16x16_bf16 v[64:67], a[6:7], v[134:135], v[64:67]// 000000008940: D3E10040 0D030D06
	ds_read_b32 v12, v4 offset:16704                           // 000000008948: D86C4140 0C000004
	ds_read_b32 v13, v4 offset:16736                           // 000000008950: D86C4160 0D000004
	v_mfma_f32_16x16x16_bf16 v[64:67], a[8:9], v[136:137], v[64:67]// 000000008958: D3E10040 0D031108
	buffer_load_dwordx4 a[132:135], v18, s[12:15], 0 offen offset:1024// 000000008960: E05C1400 80838412
	v_mfma_f32_16x16x16_bf16 v[64:67], a[10:11], v[138:139], v[64:67]// 000000008968: D3E10040 0D03150A
	ds_read_b32 v14, v4 offset:20992                           // 000000008970: D86C5200 0E000004
	ds_read_b32 v15, v4 offset:21024                           // 000000008978: D86C5220 0F000004
	v_mfma_f32_16x16x16_bf16 v[64:67], a[12:13], v[140:141], v[64:67]// 000000008980: D3E10040 0D03190C
	v_mfma_f32_16x16x16_bf16 v[64:67], a[14:15], v[142:143], v[64:67]// 000000008988: D3E10040 0D031D0E
	ds_read_b32 v16, v4 offset:21056                           // 000000008990: D86C5240 10000004
	ds_read_b32 v17, v4 offset:21088                           // 000000008998: D86C5260 11000004
	v_mfma_f32_16x16x16_bf16 v[68:71], a[0:1], v[192:193], 0   // 0000000089A0: D3E10044 0A038100
	buffer_load_dwordx4 a[136:139], v18, s[12:15], 0 offen offset:2048// 0000000089A8: E05C1800 80838812
	v_mfma_f32_16x16x16_bf16 v[68:71], a[2:3], v[194:195], v[68:71]// 0000000089B0: D3E10044 0D138502
	v_mfma_f32_16x16x16_bf16 v[68:71], a[4:5], v[196:197], v[68:71]// 0000000089B8: D3E10044 0D138904
	v_mfma_f32_16x16x16_bf16 v[68:71], a[6:7], v[198:199], v[68:71]// 0000000089C0: D3E10044 0D138D06
	v_mfma_f32_16x16x16_bf16 v[68:71], a[8:9], v[200:201], v[68:71]// 0000000089C8: D3E10044 0D139108
	buffer_load_dwordx4 a[140:143], v18, s[12:15], 0 offen offset:3072// 0000000089D0: E05C1C00 80838C12
	v_mfma_f32_16x16x16_bf16 v[68:71], a[10:11], v[202:203], v[68:71]// 0000000089D8: D3E10044 0D13950A
	v_mfma_f32_16x16x16_bf16 v[68:71], a[12:13], v[204:205], v[68:71]// 0000000089E0: D3E10044 0D13990C
	s_waitcnt lgkmcnt(0)                                       // 0000000089E8: BF8CC07F
	s_mov_b64 exec, s[16:17]                                   // 0000000089EC: BEFE0110
	global_atomic_pk_add_bf16 v34, v10, s[8:9]                 // 0000000089F0: DD488000 00080A22
	s_mov_b64 exec, s[38:39]                                   // 0000000089F8: BEFE0126
	v_mfma_f32_16x16x16_bf16 v[68:71], a[14:15], v[206:207], v[68:71]// 0000000089FC: D3E10044 0D139D0E
	v_mfma_f32_16x16x16_bf16 v[72:75], a[16:17], v[128:129], 0 // 000000008A04: D3E10048 0A030110
	buffer_load_dwordx4 a[144:147], v19, s[12:15], 0 offen     // 000000008A0C: E05C1000 80839013
	v_mfma_f32_16x16x16_bf16 v[72:75], a[18:19], v[130:131], v[72:75]// 000000008A14: D3E10048 0D230512
	v_mfma_f32_16x16x16_bf16 v[72:75], a[20:21], v[132:133], v[72:75]// 000000008A1C: D3E10048 0D230914
	v_mfma_f32_16x16x16_bf16 v[72:75], a[22:23], v[134:135], v[72:75]// 000000008A24: D3E10048 0D230D16
	v_mfma_f32_16x16x16_bf16 v[72:75], a[24:25], v[136:137], v[72:75]// 000000008A2C: D3E10048 0D231118
	buffer_load_dwordx4 a[148:151], v19, s[12:15], 0 offen offset:1024// 000000008A34: E05C1400 80839413
	v_mfma_f32_16x16x16_bf16 v[72:75], a[26:27], v[138:139], v[72:75]// 000000008A3C: D3E10048 0D23151A
	v_mfma_f32_16x16x16_bf16 v[72:75], a[28:29], v[140:141], v[72:75]// 000000008A44: D3E10048 0D23191C
	v_mfma_f32_16x16x16_bf16 v[72:75], a[30:31], v[142:143], v[72:75]// 000000008A4C: D3E10048 0D231D1E
	v_mfma_f32_16x16x16_bf16 v[76:79], a[16:17], v[192:193], 0 // 000000008A54: D3E1004C 0A038110
	buffer_load_dwordx4 a[152:155], v19, s[12:15], 0 offen offset:2048// 000000008A5C: E05C1800 80839813
	v_mfma_f32_16x16x16_bf16 v[76:79], a[18:19], v[194:195], v[76:79]// 000000008A64: D3E1004C 0D338512
	v_mfma_f32_16x16x16_bf16 v[76:79], a[20:21], v[196:197], v[76:79]// 000000008A6C: D3E1004C 0D338914
	v_mfma_f32_16x16x16_bf16 v[76:79], a[22:23], v[198:199], v[76:79]// 000000008A74: D3E1004C 0D338D16
	v_mfma_f32_16x16x16_bf16 v[76:79], a[24:25], v[200:201], v[76:79]// 000000008A7C: D3E1004C 0D339118
	buffer_load_dwordx4 a[156:159], v19, s[12:15], 0 offen offset:3072// 000000008A84: E05C1C00 80839C13
	v_mfma_f32_16x16x16_bf16 v[76:79], a[26:27], v[202:203], v[76:79]// 000000008A8C: D3E1004C 0D33951A
	v_mfma_f32_16x16x16_bf16 v[76:79], a[28:29], v[204:205], v[76:79]// 000000008A94: D3E1004C 0D33991C
	s_mov_b64 exec, s[18:19]                                   // 000000008A9C: BEFE0112
	global_atomic_pk_add_bf16 v36, v11, s[8:9]                 // 000000008AA0: DD488000 00080B24
	s_mov_b64 exec, s[38:39]                                   // 000000008AA8: BEFE0126
	v_mfma_f32_16x16x16_bf16 v[76:79], a[30:31], v[206:207], v[76:79]// 000000008AAC: D3E1004C 0D339D1E
	s_waitcnt vmcnt(30)                                        // 000000008AB4: BF8C4F7E
	v_mfma_f32_16x16x16_bf16 v[64:67], a[32:33], v[144:145], v[64:67]// 000000008AB8: D3E10040 0D032120
	buffer_load_dwordx4 a[160:163], v20, s[12:15], 0 offen     // 000000008AC0: E05C1000 8083A014
	v_mfma_f32_16x16x16_bf16 v[64:67], a[34:35], v[146:147], v[64:67]// 000000008AC8: D3E10040 0D032522
	ds_write_b64 v3, v[80:81] offset:25344                     // 000000008AD0: D89A6300 00005003
	v_mfma_f32_16x16x16_bf16 v[64:67], a[36:37], v[148:149], v[64:67]// 000000008AD8: D3E10040 0D032924
	v_mfma_f32_16x16x16_bf16 v[64:67], a[38:39], v[150:151], v[64:67]// 000000008AE0: D3E10040 0D032D26
	ds_write_b64 v3, v[82:83] offset:29696                     // 000000008AE8: D89A7400 00005203
	v_mfma_f32_16x16x16_bf16 v[64:67], a[40:41], v[152:153], v[64:67]// 000000008AF0: D3E10040 0D033128
	buffer_load_dwordx4 a[164:167], v20, s[12:15], 0 offen offset:1024// 000000008AF8: E05C1400 8083A414
	v_mfma_f32_16x16x16_bf16 v[64:67], a[42:43], v[154:155], v[64:67]// 000000008B00: D3E10040 0D03352A
	ds_write_b64 v3, v[84:85] offset:27520                     // 000000008B08: D89A6B80 00005403
	v_mfma_f32_16x16x16_bf16 v[64:67], a[44:45], v[156:157], v[64:67]// 000000008B10: D3E10040 0D03392C
	v_mfma_f32_16x16x16_bf16 v[64:67], a[46:47], v[158:159], v[64:67]// 000000008B18: D3E10040 0D033D2E
	ds_write_b64 v3, v[86:87] offset:31872                     // 000000008B20: D89A7C80 00005603
	v_mfma_f32_16x16x16_bf16 v[68:71], a[32:33], v[208:209], v[68:71]// 000000008B28: D3E10044 0D13A120
	buffer_load_dwordx4 a[168:171], v20, s[12:15], 0 offen offset:2048// 000000008B30: E05C1800 8083A814
	v_mfma_f32_16x16x16_bf16 v[68:71], a[34:35], v[210:211], v[68:71]// 000000008B38: D3E10044 0D13A522
	v_mfma_f32_16x16x16_bf16 v[68:71], a[36:37], v[212:213], v[68:71]// 000000008B40: D3E10044 0D13A924
	v_mfma_f32_16x16x16_bf16 v[68:71], a[38:39], v[214:215], v[68:71]// 000000008B48: D3E10044 0D13AD26
	v_mfma_f32_16x16x16_bf16 v[68:71], a[40:41], v[216:217], v[68:71]// 000000008B50: D3E10044 0D13B128
	buffer_load_dwordx4 a[172:175], v20, s[12:15], 0 offen offset:3072// 000000008B58: E05C1C00 8083AC14
	v_mfma_f32_16x16x16_bf16 v[68:71], a[42:43], v[218:219], v[68:71]// 000000008B60: D3E10044 0D13B52A
	v_mfma_f32_16x16x16_bf16 v[68:71], a[44:45], v[220:221], v[68:71]// 000000008B68: D3E10044 0D13B92C
	s_mov_b64 exec, s[20:21]                                   // 000000008B70: BEFE0114
	global_atomic_pk_add_bf16 v38, v12, s[8:9]                 // 000000008B74: DD488000 00080C26
	s_mov_b64 exec, s[38:39]                                   // 000000008B7C: BEFE0126
	v_mfma_f32_16x16x16_bf16 v[68:71], a[46:47], v[222:223], v[68:71]// 000000008B80: D3E10044 0D13BD2E
	v_mfma_f32_16x16x16_bf16 v[72:75], a[48:49], v[144:145], v[72:75]// 000000008B88: D3E10048 0D232130
	buffer_load_dwordx4 a[176:179], v21, s[12:15], 0 offen     // 000000008B90: E05C1000 8083B015
	v_mfma_f32_16x16x16_bf16 v[72:75], a[50:51], v[146:147], v[72:75]// 000000008B98: D3E10048 0D232532
	v_mfma_f32_16x16x16_bf16 v[72:75], a[52:53], v[148:149], v[72:75]// 000000008BA0: D3E10048 0D232934
	v_mfma_f32_16x16x16_bf16 v[72:75], a[54:55], v[150:151], v[72:75]// 000000008BA8: D3E10048 0D232D36
	v_mfma_f32_16x16x16_bf16 v[72:75], a[56:57], v[152:153], v[72:75]// 000000008BB0: D3E10048 0D233138
	buffer_load_dwordx4 a[180:183], v21, s[12:15], 0 offen offset:1024// 000000008BB8: E05C1400 8083B415
	v_mfma_f32_16x16x16_bf16 v[72:75], a[58:59], v[154:155], v[72:75]// 000000008BC0: D3E10048 0D23353A
	v_mfma_f32_16x16x16_bf16 v[72:75], a[60:61], v[156:157], v[72:75]// 000000008BC8: D3E10048 0D23393C
	v_mfma_f32_16x16x16_bf16 v[72:75], a[62:63], v[158:159], v[72:75]// 000000008BD0: D3E10048 0D233D3E
	v_mfma_f32_16x16x16_bf16 v[76:79], a[48:49], v[208:209], v[76:79]// 000000008BD8: D3E1004C 0D33A130
	buffer_load_dwordx4 a[184:187], v21, s[12:15], 0 offen offset:2048// 000000008BE0: E05C1800 8083B815
	v_mfma_f32_16x16x16_bf16 v[76:79], a[50:51], v[210:211], v[76:79]// 000000008BE8: D3E1004C 0D33A532
	v_mfma_f32_16x16x16_bf16 v[76:79], a[52:53], v[212:213], v[76:79]// 000000008BF0: D3E1004C 0D33A934
	v_mfma_f32_16x16x16_bf16 v[76:79], a[54:55], v[214:215], v[76:79]// 000000008BF8: D3E1004C 0D33AD36
	v_mfma_f32_16x16x16_bf16 v[76:79], a[56:57], v[216:217], v[76:79]// 000000008C00: D3E1004C 0D33B138
	buffer_load_dwordx4 a[188:191], v21, s[12:15], 0 offen offset:3072// 000000008C08: E05C1C00 8083BC15
	v_mfma_f32_16x16x16_bf16 v[76:79], a[58:59], v[218:219], v[76:79]// 000000008C10: D3E1004C 0D33B53A
	v_mfma_f32_16x16x16_bf16 v[76:79], a[60:61], v[220:221], v[76:79]// 000000008C18: D3E1004C 0D33B93C
	s_mov_b64 exec, s[22:23]                                   // 000000008C20: BEFE0116
	global_atomic_pk_add_bf16 v40, v13, s[8:9]                 // 000000008C24: DD488000 00080D28
	s_mov_b64 exec, s[38:39]                                   // 000000008C2C: BEFE0126
	v_mfma_f32_16x16x16_bf16 v[76:79], a[62:63], v[222:223], v[76:79]// 000000008C30: D3E1004C 0D33BD3E
	s_waitcnt vmcnt(30)                                        // 000000008C38: BF8C4F7E
	v_mfma_f32_16x16x16_bf16 v[64:67], a[64:65], v[160:161], v[64:67]// 000000008C3C: D3E10040 0D034140
	buffer_load_dwordx4 a[192:195], v22, s[12:15], 0 offen     // 000000008C44: E05C1000 8083C016
	v_mfma_f32_16x16x16_bf16 v[64:67], a[66:67], v[162:163], v[64:67]// 000000008C4C: D3E10040 0D034542
	v_mfma_f32_16x16x16_bf16 v[64:67], a[68:69], v[164:165], v[64:67]// 000000008C54: D3E10040 0D034944
	s_add_u32 s60, 0x100, s80                                  // 000000008C5C: 803C50FF 00000100
	s_cmp_lt_u32 s60, s81                                      // 000000008C64: BF0A513C
	s_cselect_b32 s56, s56, 0                                  // 000000008C68: 85388038
	v_mfma_f32_16x16x16_bf16 v[64:67], a[70:71], v[166:167], v[64:67]// 000000008C6C: D3E10040 0D034D46
	v_mfma_f32_16x16x16_bf16 v[64:67], a[72:73], v[168:169], v[64:67]// 000000008C74: D3E10040 0D035148
	buffer_load_dwordx4 a[196:199], v22, s[12:15], 0 offen offset:1024// 000000008C7C: E05C1400 8083C416
	v_mfma_f32_16x16x16_bf16 v[64:67], a[74:75], v[170:171], v[64:67]// 000000008C84: D3E10040 0D03554A
	v_mfma_f32_16x16x16_bf16 v[64:67], a[76:77], v[172:173], v[64:67]// 000000008C8C: D3E10040 0D03594C
	s_cmp_ge_u32 s80, 0x100                                    // 000000008C94: BF09FF50 00000100
	s_cselect_b32 s59, 0x100, s59                              // 000000008C9C: 853B3BFF 00000100
	v_mfma_f32_16x16x16_bf16 v[64:67], a[78:79], v[174:175], v[64:67]// 000000008CA4: D3E10040 0D035D4E
	v_mfma_f32_16x16x16_bf16 v[68:71], a[64:65], v[224:225], v[68:71]// 000000008CAC: D3E10044 0D13C140
	buffer_load_dwordx4 a[200:203], v22, s[12:15], 0 offen offset:2048// 000000008CB4: E05C1800 8083C816
	v_mfma_f32_16x16x16_bf16 v[68:71], a[66:67], v[226:227], v[68:71]// 000000008CBC: D3E10044 0D13C542
	v_mfma_f32_16x16x16_bf16 v[68:71], a[68:69], v[228:229], v[68:71]// 000000008CC4: D3E10044 0D13C944
	s_add_u32 s16, s57, s16                                    // 000000008CCC: 80101039
	s_addc_u32 s17, 0, s17                                     // 000000008CD0: 82111180
	v_mfma_f32_16x16x16_bf16 v[68:71], a[70:71], v[230:231], v[68:71]// 000000008CD4: D3E10044 0D13CD46
	v_mfma_f32_16x16x16_bf16 v[68:71], a[72:73], v[232:233], v[68:71]// 000000008CDC: D3E10044 0D13D148
	buffer_load_dwordx4 a[204:207], v22, s[12:15], 0 offen offset:3072// 000000008CE4: E05C1C00 8083CC16
	v_mfma_f32_16x16x16_bf16 v[68:71], a[74:75], v[234:235], v[68:71]// 000000008CEC: D3E10044 0D13D54A
	v_mfma_f32_16x16x16_bf16 v[68:71], a[76:77], v[236:237], v[68:71]// 000000008CF4: D3E10044 0D13D94C
	s_mov_b64 exec, s[24:25]                                   // 000000008CFC: BEFE0118
	global_atomic_pk_add_bf16 v42, v14, s[8:9]                 // 000000008D00: DD488000 00080E2A
	s_mov_b64 exec, s[38:39]                                   // 000000008D08: BEFE0126
	v_mfma_f32_16x16x16_bf16 v[68:71], a[78:79], v[238:239], v[68:71]// 000000008D0C: D3E10044 0D13DD4E
	v_mfma_f32_16x16x16_bf16 v[72:75], a[80:81], v[160:161], v[72:75]// 000000008D14: D3E10048 0D234150
	buffer_load_dwordx4 a[208:211], v23, s[12:15], 0 offen     // 000000008D1C: E05C1000 8083D017
	v_mfma_f32_16x16x16_bf16 v[72:75], a[82:83], v[162:163], v[72:75]// 000000008D24: D3E10048 0D234552
	v_mfma_f32_16x16x16_bf16 v[72:75], a[84:85], v[164:165], v[72:75]// 000000008D2C: D3E10048 0D234954
	v_mfma_f32_16x16x16_bf16 v[72:75], a[86:87], v[166:167], v[72:75]// 000000008D34: D3E10048 0D234D56
	v_mfma_f32_16x16x16_bf16 v[72:75], a[88:89], v[168:169], v[72:75]// 000000008D3C: D3E10048 0D235158
	buffer_load_dwordx4 a[212:215], v23, s[12:15], 0 offen offset:1024// 000000008D44: E05C1400 8083D417
	v_mfma_f32_16x16x16_bf16 v[72:75], a[90:91], v[170:171], v[72:75]// 000000008D4C: D3E10048 0D23555A
	v_mfma_f32_16x16x16_bf16 v[72:75], a[92:93], v[172:173], v[72:75]// 000000008D54: D3E10048 0D23595C
	v_mfma_f32_16x16x16_bf16 v[72:75], a[94:95], v[174:175], v[72:75]// 000000008D5C: D3E10048 0D235D5E
	v_mfma_f32_16x16x16_bf16 v[76:79], a[80:81], v[224:225], v[76:79]// 000000008D64: D3E1004C 0D33C150
	buffer_load_dwordx4 a[216:219], v23, s[12:15], 0 offen offset:2048// 000000008D6C: E05C1800 8083D817
	v_mfma_f32_16x16x16_bf16 v[76:79], a[82:83], v[226:227], v[76:79]// 000000008D74: D3E1004C 0D33C552
	v_mfma_f32_16x16x16_bf16 v[76:79], a[84:85], v[228:229], v[76:79]// 000000008D7C: D3E1004C 0D33C954
	v_mfma_f32_16x16x16_bf16 v[76:79], a[86:87], v[230:231], v[76:79]// 000000008D84: D3E1004C 0D33CD56
	v_mfma_f32_16x16x16_bf16 v[76:79], a[88:89], v[232:233], v[76:79]// 000000008D8C: D3E1004C 0D33D158
	buffer_load_dwordx4 a[220:223], v23, s[12:15], 0 offen offset:3072// 000000008D94: E05C1C00 8083DC17
	v_mfma_f32_16x16x16_bf16 v[76:79], a[90:91], v[234:235], v[76:79]// 000000008D9C: D3E1004C 0D33D55A
	v_mfma_f32_16x16x16_bf16 v[76:79], a[92:93], v[236:237], v[76:79]// 000000008DA4: D3E1004C 0D33D95C
	s_mov_b64 exec, s[26:27]                                   // 000000008DAC: BEFE011A
	global_atomic_pk_add_bf16 v44, v15, s[8:9]                 // 000000008DB0: DD488000 00080F2C
	s_mov_b64 exec, s[38:39]                                   // 000000008DB8: BEFE0126
	v_mfma_f32_16x16x16_bf16 v[76:79], a[94:95], v[238:239], v[76:79]// 000000008DBC: D3E1004C 0D33DD5E
	s_waitcnt vmcnt(30)                                        // 000000008DC4: BF8C4F7E
	v_mfma_f32_16x16x16_bf16 v[64:67], a[96:97], v[176:177], v[64:67]// 000000008DC8: D3E10040 0D036160
	buffer_load_dwordx4 a[224:227], v24, s[12:15], 0 offen     // 000000008DD0: E05C1000 8083E018
	v_mfma_f32_16x16x16_bf16 v[64:67], a[98:99], v[178:179], v[64:67]// 000000008DD8: D3E10040 0D036562
	v_mfma_f32_16x16x16_bf16 v[64:67], a[100:101], v[180:181], v[64:67]// 000000008DE0: D3E10040 0D036964
	v_mfma_f32_16x16x16_bf16 v[64:67], a[102:103], v[182:183], v[64:67]// 000000008DE8: D3E10040 0D036D66
	v_mfma_f32_16x16x16_bf16 v[64:67], a[104:105], v[184:185], v[64:67]// 000000008DF0: D3E10040 0D037168
	buffer_load_dwordx4 a[228:231], v24, s[12:15], 0 offen offset:1024// 000000008DF8: E05C1400 8083E418
	v_mfma_f32_16x16x16_bf16 v[64:67], a[106:107], v[186:187], v[64:67]// 000000008E00: D3E10040 0D03756A
	v_mfma_f32_16x16x16_bf16 v[64:67], a[108:109], v[188:189], v[64:67]// 000000008E08: D3E10040 0D03796C
	v_mfma_f32_16x16x16_bf16 v[64:67], a[110:111], v[190:191], v[64:67]// 000000008E10: D3E10040 0D037D6E
	v_mfma_f32_16x16x16_bf16 v[68:71], a[96:97], v[240:241], v[68:71]// 000000008E18: D3E10044 0D13E160
	buffer_load_dwordx4 a[232:235], v24, s[12:15], 0 offen offset:2048// 000000008E20: E05C1800 8083E818
	v_mfma_f32_16x16x16_bf16 v[68:71], a[98:99], v[242:243], v[68:71]// 000000008E28: D3E10044 0D13E562
	v_mfma_f32_16x16x16_bf16 v[68:71], a[100:101], v[244:245], v[68:71]// 000000008E30: D3E10044 0D13E964
	v_mfma_f32_16x16x16_bf16 v[68:71], a[102:103], v[246:247], v[68:71]// 000000008E38: D3E10044 0D13ED66
	v_mfma_f32_16x16x16_bf16 v[68:71], a[104:105], v[248:249], v[68:71]// 000000008E40: D3E10044 0D13F168
	buffer_load_dwordx4 a[236:239], v24, s[12:15], 0 offen offset:3072// 000000008E48: E05C1C00 8083EC18
	v_mfma_f32_16x16x16_bf16 v[68:71], a[106:107], v[250:251], v[68:71]// 000000008E50: D3E10044 0D13F56A
	v_mfma_f32_16x16x16_bf16 v[68:71], a[108:109], v[252:253], v[68:71]// 000000008E58: D3E10044 0D13F96C
	s_mov_b64 exec, s[28:29]                                   // 000000008E60: BEFE011C
	global_atomic_pk_add_bf16 v46, v16, s[8:9]                 // 000000008E64: DD488000 0008102E
	s_mov_b64 exec, s[38:39]                                   // 000000008E6C: BEFE0126
	v_mfma_f32_16x16x16_bf16 v[68:71], a[110:111], v[254:255], v[68:71]// 000000008E70: D3E10044 0D13FD6E
	v_mfma_f32_16x16x16_bf16 v[72:75], a[112:113], v[176:177], v[72:75]// 000000008E78: D3E10048 0D236170
	buffer_load_dwordx4 a[240:243], v25, s[12:15], 0 offen     // 000000008E80: E05C1000 8083F019
	v_mfma_f32_16x16x16_bf16 v[72:75], a[114:115], v[178:179], v[72:75]// 000000008E88: D3E10048 0D236572
	v_mfma_f32_16x16x16_bf16 v[72:75], a[116:117], v[180:181], v[72:75]// 000000008E90: D3E10048 0D236974
	v_mfma_f32_16x16x16_bf16 v[72:75], a[118:119], v[182:183], v[72:75]// 000000008E98: D3E10048 0D236D76
	v_mfma_f32_16x16x16_bf16 v[72:75], a[120:121], v[184:185], v[72:75]// 000000008EA0: D3E10048 0D237178
	buffer_load_dwordx4 a[244:247], v25, s[12:15], 0 offen offset:1024// 000000008EA8: E05C1400 8083F419
	v_mfma_f32_16x16x16_bf16 v[72:75], a[122:123], v[186:187], v[72:75]// 000000008EB0: D3E10048 0D23757A
	v_mfma_f32_16x16x16_bf16 v[72:75], a[124:125], v[188:189], v[72:75]// 000000008EB8: D3E10048 0D23797C
	v_mfma_f32_16x16x16_bf16 v[72:75], a[126:127], v[190:191], v[72:75]// 000000008EC0: D3E10048 0D237D7E
	v_mfma_f32_16x16x16_bf16 v[76:79], a[112:113], v[240:241], v[76:79]// 000000008EC8: D3E1004C 0D33E170
	buffer_load_dwordx4 a[248:251], v25, s[12:15], 0 offen offset:2048// 000000008ED0: E05C1800 8083F819
	v_mfma_f32_16x16x16_bf16 v[76:79], a[114:115], v[242:243], v[76:79]// 000000008ED8: D3E1004C 0D33E572
	v_mfma_f32_16x16x16_bf16 v[76:79], a[116:117], v[244:245], v[76:79]// 000000008EE0: D3E1004C 0D33E974
	v_mfma_f32_16x16x16_bf16 v[76:79], a[118:119], v[246:247], v[76:79]// 000000008EE8: D3E1004C 0D33ED76
	v_mfma_f32_16x16x16_bf16 v[76:79], a[120:121], v[248:249], v[76:79]// 000000008EF0: D3E1004C 0D33F178
	buffer_load_dwordx4 a[252:255], v25, s[12:15], 0 offen offset:3072// 000000008EF8: E05C1C00 8083FC19
	v_mfma_f32_16x16x16_bf16 v[76:79], a[122:123], v[250:251], v[76:79]// 000000008F00: D3E1004C 0D33F57A
	v_mfma_f32_16x16x16_bf16 v[76:79], a[124:125], v[252:253], v[76:79]// 000000008F08: D3E1004C 0D33F97C
	s_mov_b64 exec, s[30:31]                                   // 000000008F10: BEFE011E
	global_atomic_pk_add_bf16 v48, v17, s[8:9]                 // 000000008F14: DD488000 00081130
	s_mov_b64 exec, s[38:39]                                   // 000000008F1C: BEFE0126
	s_add_u32 s12, s56, s12                                    // 000000008F20: 800C0C38
	s_addc_u32 s13, 0, s13                                     // 000000008F24: 820D0D80
	v_mfma_f32_16x16x16_bf16 v[76:79], a[126:127], v[254:255], v[76:79]// 000000008F28: D3E1004C 0D33FD7E
	s_add_u32 s8, s59, s8                                      // 000000008F30: 8008083B
	s_addc_u32 s9, 0, s9                                       // 000000008F34: 82090980
	v_mul_f32_e32 v64, v8, v64                                 // 000000008F38: 0A808108
	v_mul_f32_e32 v65, v8, v65                                 // 000000008F3C: 0A828308
	v_mul_f32_e32 v66, v8, v66                                 // 000000008F40: 0A848508
	v_mul_f32_e32 v67, v8, v67                                 // 000000008F44: 0A868708
	v_mul_f32_e32 v68, v9, v68                                 // 000000008F48: 0A888909
	v_mul_f32_e32 v69, v9, v69                                 // 000000008F4C: 0A8A8B09
	v_mul_f32_e32 v70, v9, v70                                 // 000000008F50: 0A8C8D09
	v_mul_f32_e32 v71, v9, v71                                 // 000000008F54: 0A8E8F09
	v_mul_f32_e32 v72, v8, v72                                 // 000000008F58: 0A909108
	v_mul_f32_e32 v73, v8, v73                                 // 000000008F5C: 0A929308
	v_mul_f32_e32 v74, v8, v74                                 // 000000008F60: 0A949508
	v_mul_f32_e32 v75, v8, v75                                 // 000000008F64: 0A969708
	v_mul_f32_e32 v76, v9, v76                                 // 000000008F68: 0A989909
	v_mul_f32_e32 v77, v9, v77                                 // 000000008F6C: 0A9A9B09
	v_mul_f32_e32 v78, v9, v78                                 // 000000008F70: 0A9C9D09
	v_mul_f32_e32 v79, v9, v79                                 // 000000008F74: 0A9E9F09
	v_cmp_u_f32_e64 s[34:35], v64, v64                         // 000000008F78: D0480022 00028140
	v_add3_u32 v50, v64, v53, 1                                // 000000008F80: D1FF0032 02066B40
	v_cndmask_b32_e64 v54, v50, v52, s[34:35]                  // 000000008F88: D1000036 008A6932
	v_cmp_u_f32_e64 s[34:35], v65, v65                         // 000000008F90: D0480022 00028341
	v_add3_u32 v50, v65, v53, 1                                // 000000008F98: D1FF0032 02066B41
	v_cndmask_b32_e64 v55, v50, v52, s[34:35]                  // 000000008FA0: D1000037 008A6932
	v_perm_b32 v64, v55, v54, s52                              // 000000008FA8: D1ED0040 00D26D37
	v_cmp_u_f32_e64 s[34:35], v66, v66                         // 000000008FB0: D0480022 00028542
	v_add3_u32 v50, v66, v53, 1                                // 000000008FB8: D1FF0032 02066B42
	v_cndmask_b32_e64 v54, v50, v52, s[34:35]                  // 000000008FC0: D1000036 008A6932
	v_cmp_u_f32_e64 s[34:35], v67, v67                         // 000000008FC8: D0480022 00028743
	v_add3_u32 v50, v67, v53, 1                                // 000000008FD0: D1FF0032 02066B43
	v_cndmask_b32_e64 v55, v50, v52, s[34:35]                  // 000000008FD8: D1000037 008A6932
	v_perm_b32 v65, v55, v54, s52                              // 000000008FE0: D1ED0041 00D26D37
	v_cmp_u_f32_e64 s[34:35], v68, v68                         // 000000008FE8: D0480022 00028944
	v_add3_u32 v50, v68, v53, 1                                // 000000008FF0: D1FF0032 02066B44
	v_cndmask_b32_e64 v54, v50, v52, s[34:35]                  // 000000008FF8: D1000036 008A6932
	v_cmp_u_f32_e64 s[34:35], v69, v69                         // 000000009000: D0480022 00028B45
	v_add3_u32 v50, v69, v53, 1                                // 000000009008: D1FF0032 02066B45
	v_cndmask_b32_e64 v55, v50, v52, s[34:35]                  // 000000009010: D1000037 008A6932
	v_perm_b32 v66, v55, v54, s52                              // 000000009018: D1ED0042 00D26D37
	v_cmp_u_f32_e64 s[34:35], v70, v70                         // 000000009020: D0480022 00028D46
	v_add3_u32 v50, v70, v53, 1                                // 000000009028: D1FF0032 02066B46
	v_cndmask_b32_e64 v54, v50, v52, s[34:35]                  // 000000009030: D1000036 008A6932
	v_cmp_u_f32_e64 s[34:35], v71, v71                         // 000000009038: D0480022 00028F47
	v_add3_u32 v50, v71, v53, 1                                // 000000009040: D1FF0032 02066B47
	v_cndmask_b32_e64 v55, v50, v52, s[34:35]                  // 000000009048: D1000037 008A6932
	v_perm_b32 v67, v55, v54, s52                              // 000000009050: D1ED0043 00D26D37
	v_cmp_u_f32_e64 s[34:35], v72, v72                         // 000000009058: D0480022 00029148
	v_add3_u32 v50, v72, v53, 1                                // 000000009060: D1FF0032 02066B48
	v_cndmask_b32_e64 v54, v50, v52, s[34:35]                  // 000000009068: D1000036 008A6932
	v_cmp_u_f32_e64 s[34:35], v73, v73                         // 000000009070: D0480022 00029349
	v_add3_u32 v50, v73, v53, 1                                // 000000009078: D1FF0032 02066B49
	v_cndmask_b32_e64 v55, v50, v52, s[34:35]                  // 000000009080: D1000037 008A6932
	v_perm_b32 v68, v55, v54, s52                              // 000000009088: D1ED0044 00D26D37
	v_cmp_u_f32_e64 s[34:35], v74, v74                         // 000000009090: D0480022 0002954A
	v_add3_u32 v50, v74, v53, 1                                // 000000009098: D1FF0032 02066B4A
	v_cndmask_b32_e64 v54, v50, v52, s[34:35]                  // 0000000090A0: D1000036 008A6932
	v_cmp_u_f32_e64 s[34:35], v75, v75                         // 0000000090A8: D0480022 0002974B
	v_add3_u32 v50, v75, v53, 1                                // 0000000090B0: D1FF0032 02066B4B
	v_cndmask_b32_e64 v55, v50, v52, s[34:35]                  // 0000000090B8: D1000037 008A6932
	v_perm_b32 v69, v55, v54, s52                              // 0000000090C0: D1ED0045 00D26D37
	v_cmp_u_f32_e64 s[34:35], v76, v76                         // 0000000090C8: D0480022 0002994C
	v_add3_u32 v50, v76, v53, 1                                // 0000000090D0: D1FF0032 02066B4C
	v_cndmask_b32_e64 v54, v50, v52, s[34:35]                  // 0000000090D8: D1000036 008A6932
	v_cmp_u_f32_e64 s[34:35], v77, v77                         // 0000000090E0: D0480022 00029B4D
	v_add3_u32 v50, v77, v53, 1                                // 0000000090E8: D1FF0032 02066B4D
	v_cndmask_b32_e64 v55, v50, v52, s[34:35]                  // 0000000090F0: D1000037 008A6932
	v_perm_b32 v70, v55, v54, s52                              // 0000000090F8: D1ED0046 00D26D37
	v_cmp_u_f32_e64 s[34:35], v78, v78                         // 000000009100: D0480022 00029D4E
	v_add3_u32 v50, v78, v53, 1                                // 000000009108: D1FF0032 02066B4E
	v_cndmask_b32_e64 v54, v50, v52, s[34:35]                  // 000000009110: D1000036 008A6932
	v_cmp_u_f32_e64 s[34:35], v79, v79                         // 000000009118: D0480022 00029F4F
	v_add3_u32 v50, v79, v53, 1                                // 000000009120: D1FF0032 02066B4F
	v_cndmask_b32_e64 v55, v50, v52, s[34:35]                  // 000000009128: D1000037 008A6932
	v_perm_b32 v71, v55, v54, s52                              // 000000009130: D1ED0047 00D26D37
	s_addk_i32 s80, 0x80                                       // 000000009138: B7500080
	s_cmp_lt_i32 s80, s81                                      // 00000000913C: BF045150
	s_cbranch_scc0 label_0ED8                                  // 000000009140: BF84F547
	s_waitcnt vmcnt(30) lgkmcnt(0)                             // 000000009144: BF8C407E
	s_barrier                                                  // 000000009148: BF8A0000
	v_mfma_f32_16x16x16_bf16 v[80:83], a[128:129], v[128:129], 0// 00000000914C: D3E10050 0A030180
	buffer_load_dwordx4 a[0:3], v18, s[12:15], 0 offen         // 000000009154: E05C1000 80830012
	v_mfma_f32_16x16x16_bf16 v[80:83], a[130:131], v[130:131], v[80:83]// 00000000915C: D3E10050 0D430582
	ds_read_b32 v10, v4 offset:25344                           // 000000009164: D86C6300 0A000004
	ds_read_b32 v11, v4 offset:25376                           // 00000000916C: D86C6320 0B000004
	v_mfma_f32_16x16x16_bf16 v[80:83], a[132:133], v[132:133], v[80:83]// 000000009174: D3E10050 0D430984
	v_mfma_f32_16x16x16_bf16 v[80:83], a[134:135], v[134:135], v[80:83]// 00000000917C: D3E10050 0D430D86
	ds_read_b32 v12, v4 offset:25408                           // 000000009184: D86C6340 0C000004
	ds_read_b32 v13, v4 offset:25440                           // 00000000918C: D86C6360 0D000004
	v_mfma_f32_16x16x16_bf16 v[80:83], a[136:137], v[136:137], v[80:83]// 000000009194: D3E10050 0D431188
	buffer_load_dwordx4 a[4:7], v18, s[12:15], 0 offen offset:1024// 00000000919C: E05C1400 80830412
	v_mfma_f32_16x16x16_bf16 v[80:83], a[138:139], v[138:139], v[80:83]// 0000000091A4: D3E10050 0D43158A
	ds_read_b32 v14, v4 offset:29696                           // 0000000091AC: D86C7400 0E000004
	ds_read_b32 v15, v4 offset:29728                           // 0000000091B4: D86C7420 0F000004
	v_mfma_f32_16x16x16_bf16 v[80:83], a[140:141], v[140:141], v[80:83]// 0000000091BC: D3E10050 0D43198C
	v_mfma_f32_16x16x16_bf16 v[80:83], a[142:143], v[142:143], v[80:83]// 0000000091C4: D3E10050 0D431D8E
	ds_read_b32 v16, v4 offset:29760                           // 0000000091CC: D86C7440 10000004
	ds_read_b32 v17, v4 offset:29792                           // 0000000091D4: D86C7460 11000004
	v_mfma_f32_16x16x16_bf16 v[84:87], a[128:129], v[192:193], 0// 0000000091DC: D3E10054 0A038180
	buffer_load_dwordx4 a[8:11], v18, s[12:15], 0 offen offset:2048// 0000000091E4: E05C1800 80830812
	v_mfma_f32_16x16x16_bf16 v[84:87], a[130:131], v[194:195], v[84:87]// 0000000091EC: D3E10054 0D538582
	v_mfma_f32_16x16x16_bf16 v[84:87], a[132:133], v[196:197], v[84:87]// 0000000091F4: D3E10054 0D538984
	v_mfma_f32_16x16x16_bf16 v[84:87], a[134:135], v[198:199], v[84:87]// 0000000091FC: D3E10054 0D538D86
	v_mfma_f32_16x16x16_bf16 v[84:87], a[136:137], v[200:201], v[84:87]// 000000009204: D3E10054 0D539188
	buffer_load_dwordx4 a[12:15], v18, s[12:15], 0 offen offset:3072// 00000000920C: E05C1C00 80830C12
	v_mfma_f32_16x16x16_bf16 v[84:87], a[138:139], v[202:203], v[84:87]// 000000009214: D3E10054 0D53958A
	v_mfma_f32_16x16x16_bf16 v[84:87], a[140:141], v[204:205], v[84:87]// 00000000921C: D3E10054 0D53998C
	s_waitcnt lgkmcnt(0)                                       // 000000009224: BF8CC07F
	s_mov_b64 exec, s[16:17]                                   // 000000009228: BEFE0110
	global_atomic_pk_add_bf16 v34, v10, s[8:9]                 // 00000000922C: DD488000 00080A22
	s_mov_b64 exec, s[38:39]                                   // 000000009234: BEFE0126
	v_mfma_f32_16x16x16_bf16 v[84:87], a[142:143], v[206:207], v[84:87]// 000000009238: D3E10054 0D539D8E
	v_mfma_f32_16x16x16_bf16 v[88:91], a[144:145], v[128:129], 0// 000000009240: D3E10058 0A030190
	buffer_load_dwordx4 a[16:19], v19, s[12:15], 0 offen       // 000000009248: E05C1000 80831013
	v_mfma_f32_16x16x16_bf16 v[88:91], a[146:147], v[130:131], v[88:91]// 000000009250: D3E10058 0D630592
	v_mfma_f32_16x16x16_bf16 v[88:91], a[148:149], v[132:133], v[88:91]// 000000009258: D3E10058 0D630994
	v_mfma_f32_16x16x16_bf16 v[88:91], a[150:151], v[134:135], v[88:91]// 000000009260: D3E10058 0D630D96
	v_mfma_f32_16x16x16_bf16 v[88:91], a[152:153], v[136:137], v[88:91]// 000000009268: D3E10058 0D631198
	buffer_load_dwordx4 a[20:23], v19, s[12:15], 0 offen offset:1024// 000000009270: E05C1400 80831413
	v_mfma_f32_16x16x16_bf16 v[88:91], a[154:155], v[138:139], v[88:91]// 000000009278: D3E10058 0D63159A
	v_mfma_f32_16x16x16_bf16 v[88:91], a[156:157], v[140:141], v[88:91]// 000000009280: D3E10058 0D63199C
	v_mfma_f32_16x16x16_bf16 v[88:91], a[158:159], v[142:143], v[88:91]// 000000009288: D3E10058 0D631D9E
	v_mfma_f32_16x16x16_bf16 v[92:95], a[144:145], v[192:193], 0// 000000009290: D3E1005C 0A038190
	buffer_load_dwordx4 a[24:27], v19, s[12:15], 0 offen offset:2048// 000000009298: E05C1800 80831813
	v_mfma_f32_16x16x16_bf16 v[92:95], a[146:147], v[194:195], v[92:95]// 0000000092A0: D3E1005C 0D738592
	v_mfma_f32_16x16x16_bf16 v[92:95], a[148:149], v[196:197], v[92:95]// 0000000092A8: D3E1005C 0D738994
	v_mfma_f32_16x16x16_bf16 v[92:95], a[150:151], v[198:199], v[92:95]// 0000000092B0: D3E1005C 0D738D96
	v_mfma_f32_16x16x16_bf16 v[92:95], a[152:153], v[200:201], v[92:95]// 0000000092B8: D3E1005C 0D739198
	buffer_load_dwordx4 a[28:31], v19, s[12:15], 0 offen offset:3072// 0000000092C0: E05C1C00 80831C13
	v_mfma_f32_16x16x16_bf16 v[92:95], a[154:155], v[202:203], v[92:95]// 0000000092C8: D3E1005C 0D73959A
	v_mfma_f32_16x16x16_bf16 v[92:95], a[156:157], v[204:205], v[92:95]// 0000000092D0: D3E1005C 0D73999C
	s_mov_b64 exec, s[18:19]                                   // 0000000092D8: BEFE0112
	global_atomic_pk_add_bf16 v36, v11, s[8:9]                 // 0000000092DC: DD488000 00080B24
	s_mov_b64 exec, s[38:39]                                   // 0000000092E4: BEFE0126
	v_mfma_f32_16x16x16_bf16 v[92:95], a[158:159], v[206:207], v[92:95]// 0000000092E8: D3E1005C 0D739D9E
	s_waitcnt vmcnt(30)                                        // 0000000092F0: BF8C4F7E
	v_mfma_f32_16x16x16_bf16 v[80:83], a[160:161], v[144:145], v[80:83]// 0000000092F4: D3E10050 0D4321A0
	buffer_load_dwordx4 a[32:35], v20, s[12:15], 0 offen       // 0000000092FC: E05C1000 80832014
	v_mfma_f32_16x16x16_bf16 v[80:83], a[162:163], v[146:147], v[80:83]// 000000009304: D3E10050 0D4325A2
	ds_write_b64 v3, v[64:65] offset:16640                     // 00000000930C: D89A4100 00004003
	v_mfma_f32_16x16x16_bf16 v[80:83], a[164:165], v[148:149], v[80:83]// 000000009314: D3E10050 0D4329A4
	v_mfma_f32_16x16x16_bf16 v[80:83], a[166:167], v[150:151], v[80:83]// 00000000931C: D3E10050 0D432DA6
	ds_write_b64 v3, v[66:67] offset:20992                     // 000000009324: D89A5200 00004203
	v_mfma_f32_16x16x16_bf16 v[80:83], a[168:169], v[152:153], v[80:83]// 00000000932C: D3E10050 0D4331A8
	buffer_load_dwordx4 a[36:39], v20, s[12:15], 0 offen offset:1024// 000000009334: E05C1400 80832414
	v_mfma_f32_16x16x16_bf16 v[80:83], a[170:171], v[154:155], v[80:83]// 00000000933C: D3E10050 0D4335AA
	ds_write_b64 v3, v[68:69] offset:18816                     // 000000009344: D89A4980 00004403
	v_mfma_f32_16x16x16_bf16 v[80:83], a[172:173], v[156:157], v[80:83]// 00000000934C: D3E10050 0D4339AC
	v_mfma_f32_16x16x16_bf16 v[80:83], a[174:175], v[158:159], v[80:83]// 000000009354: D3E10050 0D433DAE
	ds_write_b64 v3, v[70:71] offset:23168                     // 00000000935C: D89A5A80 00004603
	v_mfma_f32_16x16x16_bf16 v[84:87], a[160:161], v[208:209], v[84:87]// 000000009364: D3E10054 0D53A1A0
	buffer_load_dwordx4 a[40:43], v20, s[12:15], 0 offen offset:2048// 00000000936C: E05C1800 80832814
	v_mfma_f32_16x16x16_bf16 v[84:87], a[162:163], v[210:211], v[84:87]// 000000009374: D3E10054 0D53A5A2
	v_mfma_f32_16x16x16_bf16 v[84:87], a[164:165], v[212:213], v[84:87]// 00000000937C: D3E10054 0D53A9A4
	v_mfma_f32_16x16x16_bf16 v[84:87], a[166:167], v[214:215], v[84:87]// 000000009384: D3E10054 0D53ADA6
	v_mfma_f32_16x16x16_bf16 v[84:87], a[168:169], v[216:217], v[84:87]// 00000000938C: D3E10054 0D53B1A8
	buffer_load_dwordx4 a[44:47], v20, s[12:15], 0 offen offset:3072// 000000009394: E05C1C00 80832C14
	v_mfma_f32_16x16x16_bf16 v[84:87], a[170:171], v[218:219], v[84:87]// 00000000939C: D3E10054 0D53B5AA
	v_mfma_f32_16x16x16_bf16 v[84:87], a[172:173], v[220:221], v[84:87]// 0000000093A4: D3E10054 0D53B9AC
	s_mov_b64 exec, s[20:21]                                   // 0000000093AC: BEFE0114
	global_atomic_pk_add_bf16 v38, v12, s[8:9]                 // 0000000093B0: DD488000 00080C26
	s_mov_b64 exec, s[38:39]                                   // 0000000093B8: BEFE0126
	v_mfma_f32_16x16x16_bf16 v[84:87], a[174:175], v[222:223], v[84:87]// 0000000093BC: D3E10054 0D53BDAE
	v_mfma_f32_16x16x16_bf16 v[88:91], a[176:177], v[144:145], v[88:91]// 0000000093C4: D3E10058 0D6321B0
	buffer_load_dwordx4 a[48:51], v21, s[12:15], 0 offen       // 0000000093CC: E05C1000 80833015
	v_mfma_f32_16x16x16_bf16 v[88:91], a[178:179], v[146:147], v[88:91]// 0000000093D4: D3E10058 0D6325B2
	v_mfma_f32_16x16x16_bf16 v[88:91], a[180:181], v[148:149], v[88:91]// 0000000093DC: D3E10058 0D6329B4
	v_mfma_f32_16x16x16_bf16 v[88:91], a[182:183], v[150:151], v[88:91]// 0000000093E4: D3E10058 0D632DB6
	v_mfma_f32_16x16x16_bf16 v[88:91], a[184:185], v[152:153], v[88:91]// 0000000093EC: D3E10058 0D6331B8
	buffer_load_dwordx4 a[52:55], v21, s[12:15], 0 offen offset:1024// 0000000093F4: E05C1400 80833415
	v_mfma_f32_16x16x16_bf16 v[88:91], a[186:187], v[154:155], v[88:91]// 0000000093FC: D3E10058 0D6335BA
	v_mfma_f32_16x16x16_bf16 v[88:91], a[188:189], v[156:157], v[88:91]// 000000009404: D3E10058 0D6339BC
	v_mfma_f32_16x16x16_bf16 v[88:91], a[190:191], v[158:159], v[88:91]// 00000000940C: D3E10058 0D633DBE
	v_mfma_f32_16x16x16_bf16 v[92:95], a[176:177], v[208:209], v[92:95]// 000000009414: D3E1005C 0D73A1B0
	buffer_load_dwordx4 a[56:59], v21, s[12:15], 0 offen offset:2048// 00000000941C: E05C1800 80833815
	v_mfma_f32_16x16x16_bf16 v[92:95], a[178:179], v[210:211], v[92:95]// 000000009424: D3E1005C 0D73A5B2
	v_mfma_f32_16x16x16_bf16 v[92:95], a[180:181], v[212:213], v[92:95]// 00000000942C: D3E1005C 0D73A9B4
	v_mfma_f32_16x16x16_bf16 v[92:95], a[182:183], v[214:215], v[92:95]// 000000009434: D3E1005C 0D73ADB6
	v_mfma_f32_16x16x16_bf16 v[92:95], a[184:185], v[216:217], v[92:95]// 00000000943C: D3E1005C 0D73B1B8
	buffer_load_dwordx4 a[60:63], v21, s[12:15], 0 offen offset:3072// 000000009444: E05C1C00 80833C15
	v_mfma_f32_16x16x16_bf16 v[92:95], a[186:187], v[218:219], v[92:95]// 00000000944C: D3E1005C 0D73B5BA
	v_mfma_f32_16x16x16_bf16 v[92:95], a[188:189], v[220:221], v[92:95]// 000000009454: D3E1005C 0D73B9BC
	s_mov_b64 exec, s[22:23]                                   // 00000000945C: BEFE0116
	global_atomic_pk_add_bf16 v40, v13, s[8:9]                 // 000000009460: DD488000 00080D28
	s_mov_b64 exec, s[38:39]                                   // 000000009468: BEFE0126
	v_mfma_f32_16x16x16_bf16 v[92:95], a[190:191], v[222:223], v[92:95]// 00000000946C: D3E1005C 0D73BDBE
	s_waitcnt vmcnt(30)                                        // 000000009474: BF8C4F7E
	v_mfma_f32_16x16x16_bf16 v[80:83], a[192:193], v[160:161], v[80:83]// 000000009478: D3E10050 0D4341C0
	buffer_load_dwordx4 a[64:67], v22, s[12:15], 0 offen       // 000000009480: E05C1000 80834016
	v_mfma_f32_16x16x16_bf16 v[80:83], a[194:195], v[162:163], v[80:83]// 000000009488: D3E10050 0D4345C2
	v_mfma_f32_16x16x16_bf16 v[80:83], a[196:197], v[164:165], v[80:83]// 000000009490: D3E10050 0D4349C4
	s_add_u32 s60, 0x100, s80                                  // 000000009498: 803C50FF 00000100
	s_cmp_lt_u32 s60, s81                                      // 0000000094A0: BF0A513C
	s_cselect_b32 s56, s56, 0                                  // 0000000094A4: 85388038
	v_mfma_f32_16x16x16_bf16 v[80:83], a[198:199], v[166:167], v[80:83]// 0000000094A8: D3E10050 0D434DC6
	v_mfma_f32_16x16x16_bf16 v[80:83], a[200:201], v[168:169], v[80:83]// 0000000094B0: D3E10050 0D4351C8
	buffer_load_dwordx4 a[68:71], v22, s[12:15], 0 offen offset:1024// 0000000094B8: E05C1400 80834416
	v_mfma_f32_16x16x16_bf16 v[80:83], a[202:203], v[170:171], v[80:83]// 0000000094C0: D3E10050 0D4355CA
	v_mfma_f32_16x16x16_bf16 v[80:83], a[204:205], v[172:173], v[80:83]// 0000000094C8: D3E10050 0D4359CC
	s_cmp_ge_u32 s80, 0x100                                    // 0000000094D0: BF09FF50 00000100
	s_cselect_b32 s59, 0x100, s59                              // 0000000094D8: 853B3BFF 00000100
	v_mfma_f32_16x16x16_bf16 v[80:83], a[206:207], v[174:175], v[80:83]// 0000000094E0: D3E10050 0D435DCE
	v_mfma_f32_16x16x16_bf16 v[84:87], a[192:193], v[224:225], v[84:87]// 0000000094E8: D3E10054 0D53C1C0
	buffer_load_dwordx4 a[72:75], v22, s[12:15], 0 offen offset:2048// 0000000094F0: E05C1800 80834816
	v_mfma_f32_16x16x16_bf16 v[84:87], a[194:195], v[226:227], v[84:87]// 0000000094F8: D3E10054 0D53C5C2
	v_mfma_f32_16x16x16_bf16 v[84:87], a[196:197], v[228:229], v[84:87]// 000000009500: D3E10054 0D53C9C4
	s_add_u32 s16, s57, s16                                    // 000000009508: 80101039
	s_addc_u32 s17, 0, s17                                     // 00000000950C: 82111180
	v_mfma_f32_16x16x16_bf16 v[84:87], a[198:199], v[230:231], v[84:87]// 000000009510: D3E10054 0D53CDC6
	v_mfma_f32_16x16x16_bf16 v[84:87], a[200:201], v[232:233], v[84:87]// 000000009518: D3E10054 0D53D1C8
	buffer_load_dwordx4 a[76:79], v22, s[12:15], 0 offen offset:3072// 000000009520: E05C1C00 80834C16
	v_mfma_f32_16x16x16_bf16 v[84:87], a[202:203], v[234:235], v[84:87]// 000000009528: D3E10054 0D53D5CA
	v_mfma_f32_16x16x16_bf16 v[84:87], a[204:205], v[236:237], v[84:87]// 000000009530: D3E10054 0D53D9CC
	s_mov_b64 exec, s[24:25]                                   // 000000009538: BEFE0118
	global_atomic_pk_add_bf16 v42, v14, s[8:9]                 // 00000000953C: DD488000 00080E2A
	s_mov_b64 exec, s[38:39]                                   // 000000009544: BEFE0126
	v_mfma_f32_16x16x16_bf16 v[84:87], a[206:207], v[238:239], v[84:87]// 000000009548: D3E10054 0D53DDCE
	v_mfma_f32_16x16x16_bf16 v[88:91], a[208:209], v[160:161], v[88:91]// 000000009550: D3E10058 0D6341D0
	buffer_load_dwordx4 a[80:83], v23, s[12:15], 0 offen       // 000000009558: E05C1000 80835017
	v_mfma_f32_16x16x16_bf16 v[88:91], a[210:211], v[162:163], v[88:91]// 000000009560: D3E10058 0D6345D2
	v_mfma_f32_16x16x16_bf16 v[88:91], a[212:213], v[164:165], v[88:91]// 000000009568: D3E10058 0D6349D4
	v_mfma_f32_16x16x16_bf16 v[88:91], a[214:215], v[166:167], v[88:91]// 000000009570: D3E10058 0D634DD6
	v_mfma_f32_16x16x16_bf16 v[88:91], a[216:217], v[168:169], v[88:91]// 000000009578: D3E10058 0D6351D8
	buffer_load_dwordx4 a[84:87], v23, s[12:15], 0 offen offset:1024// 000000009580: E05C1400 80835417
	v_mfma_f32_16x16x16_bf16 v[88:91], a[218:219], v[170:171], v[88:91]// 000000009588: D3E10058 0D6355DA
	v_mfma_f32_16x16x16_bf16 v[88:91], a[220:221], v[172:173], v[88:91]// 000000009590: D3E10058 0D6359DC
	v_mfma_f32_16x16x16_bf16 v[88:91], a[222:223], v[174:175], v[88:91]// 000000009598: D3E10058 0D635DDE
	v_mfma_f32_16x16x16_bf16 v[92:95], a[208:209], v[224:225], v[92:95]// 0000000095A0: D3E1005C 0D73C1D0
	buffer_load_dwordx4 a[88:91], v23, s[12:15], 0 offen offset:2048// 0000000095A8: E05C1800 80835817
	v_mfma_f32_16x16x16_bf16 v[92:95], a[210:211], v[226:227], v[92:95]// 0000000095B0: D3E1005C 0D73C5D2
	v_mfma_f32_16x16x16_bf16 v[92:95], a[212:213], v[228:229], v[92:95]// 0000000095B8: D3E1005C 0D73C9D4
	v_mfma_f32_16x16x16_bf16 v[92:95], a[214:215], v[230:231], v[92:95]// 0000000095C0: D3E1005C 0D73CDD6
	v_mfma_f32_16x16x16_bf16 v[92:95], a[216:217], v[232:233], v[92:95]// 0000000095C8: D3E1005C 0D73D1D8
	buffer_load_dwordx4 a[92:95], v23, s[12:15], 0 offen offset:3072// 0000000095D0: E05C1C00 80835C17
	v_mfma_f32_16x16x16_bf16 v[92:95], a[218:219], v[234:235], v[92:95]// 0000000095D8: D3E1005C 0D73D5DA
	v_mfma_f32_16x16x16_bf16 v[92:95], a[220:221], v[236:237], v[92:95]// 0000000095E0: D3E1005C 0D73D9DC
	s_mov_b64 exec, s[26:27]                                   // 0000000095E8: BEFE011A
	global_atomic_pk_add_bf16 v44, v15, s[8:9]                 // 0000000095EC: DD488000 00080F2C
	s_mov_b64 exec, s[38:39]                                   // 0000000095F4: BEFE0126
	v_mfma_f32_16x16x16_bf16 v[92:95], a[222:223], v[238:239], v[92:95]// 0000000095F8: D3E1005C 0D73DDDE
	s_waitcnt vmcnt(30)                                        // 000000009600: BF8C4F7E
	v_mfma_f32_16x16x16_bf16 v[80:83], a[224:225], v[176:177], v[80:83]// 000000009604: D3E10050 0D4361E0
	buffer_load_dwordx4 a[96:99], v24, s[12:15], 0 offen       // 00000000960C: E05C1000 80836018
	v_mfma_f32_16x16x16_bf16 v[80:83], a[226:227], v[178:179], v[80:83]// 000000009614: D3E10050 0D4365E2
	v_mfma_f32_16x16x16_bf16 v[80:83], a[228:229], v[180:181], v[80:83]// 00000000961C: D3E10050 0D4369E4
	v_mfma_f32_16x16x16_bf16 v[80:83], a[230:231], v[182:183], v[80:83]// 000000009624: D3E10050 0D436DE6
	v_mfma_f32_16x16x16_bf16 v[80:83], a[232:233], v[184:185], v[80:83]// 00000000962C: D3E10050 0D4371E8
	buffer_load_dwordx4 a[100:103], v24, s[12:15], 0 offen offset:1024// 000000009634: E05C1400 80836418
	v_mfma_f32_16x16x16_bf16 v[80:83], a[234:235], v[186:187], v[80:83]// 00000000963C: D3E10050 0D4375EA
	v_mfma_f32_16x16x16_bf16 v[80:83], a[236:237], v[188:189], v[80:83]// 000000009644: D3E10050 0D4379EC
	v_mfma_f32_16x16x16_bf16 v[80:83], a[238:239], v[190:191], v[80:83]// 00000000964C: D3E10050 0D437DEE
	v_mfma_f32_16x16x16_bf16 v[84:87], a[224:225], v[240:241], v[84:87]// 000000009654: D3E10054 0D53E1E0
	buffer_load_dwordx4 a[104:107], v24, s[12:15], 0 offen offset:2048// 00000000965C: E05C1800 80836818
	v_mfma_f32_16x16x16_bf16 v[84:87], a[226:227], v[242:243], v[84:87]// 000000009664: D3E10054 0D53E5E2
	v_mfma_f32_16x16x16_bf16 v[84:87], a[228:229], v[244:245], v[84:87]// 00000000966C: D3E10054 0D53E9E4
	v_mfma_f32_16x16x16_bf16 v[84:87], a[230:231], v[246:247], v[84:87]// 000000009674: D3E10054 0D53EDE6
	v_mfma_f32_16x16x16_bf16 v[84:87], a[232:233], v[248:249], v[84:87]// 00000000967C: D3E10054 0D53F1E8
	buffer_load_dwordx4 a[108:111], v24, s[12:15], 0 offen offset:3072// 000000009684: E05C1C00 80836C18
	v_mfma_f32_16x16x16_bf16 v[84:87], a[234:235], v[250:251], v[84:87]// 00000000968C: D3E10054 0D53F5EA
	v_mfma_f32_16x16x16_bf16 v[84:87], a[236:237], v[252:253], v[84:87]// 000000009694: D3E10054 0D53F9EC
	s_mov_b64 exec, s[28:29]                                   // 00000000969C: BEFE011C
	global_atomic_pk_add_bf16 v46, v16, s[8:9]                 // 0000000096A0: DD488000 0008102E
	s_mov_b64 exec, s[38:39]                                   // 0000000096A8: BEFE0126
	v_mfma_f32_16x16x16_bf16 v[84:87], a[238:239], v[254:255], v[84:87]// 0000000096AC: D3E10054 0D53FDEE
	v_mfma_f32_16x16x16_bf16 v[88:91], a[240:241], v[176:177], v[88:91]// 0000000096B4: D3E10058 0D6361F0
	buffer_load_dwordx4 a[112:115], v25, s[12:15], 0 offen     // 0000000096BC: E05C1000 80837019
	v_mfma_f32_16x16x16_bf16 v[88:91], a[242:243], v[178:179], v[88:91]// 0000000096C4: D3E10058 0D6365F2
	v_mfma_f32_16x16x16_bf16 v[88:91], a[244:245], v[180:181], v[88:91]// 0000000096CC: D3E10058 0D6369F4
	v_mfma_f32_16x16x16_bf16 v[88:91], a[246:247], v[182:183], v[88:91]// 0000000096D4: D3E10058 0D636DF6
	v_mfma_f32_16x16x16_bf16 v[88:91], a[248:249], v[184:185], v[88:91]// 0000000096DC: D3E10058 0D6371F8
	buffer_load_dwordx4 a[116:119], v25, s[12:15], 0 offen offset:1024// 0000000096E4: E05C1400 80837419
	v_mfma_f32_16x16x16_bf16 v[88:91], a[250:251], v[186:187], v[88:91]// 0000000096EC: D3E10058 0D6375FA
	v_mfma_f32_16x16x16_bf16 v[88:91], a[252:253], v[188:189], v[88:91]// 0000000096F4: D3E10058 0D6379FC
	v_mfma_f32_16x16x16_bf16 v[88:91], a[254:255], v[190:191], v[88:91]// 0000000096FC: D3E10058 0D637DFE
	v_mfma_f32_16x16x16_bf16 v[92:95], a[240:241], v[240:241], v[92:95]// 000000009704: D3E1005C 0D73E1F0
	buffer_load_dwordx4 a[120:123], v25, s[12:15], 0 offen offset:2048// 00000000970C: E05C1800 80837819
	v_mfma_f32_16x16x16_bf16 v[92:95], a[242:243], v[242:243], v[92:95]// 000000009714: D3E1005C 0D73E5F2
	v_mfma_f32_16x16x16_bf16 v[92:95], a[244:245], v[244:245], v[92:95]// 00000000971C: D3E1005C 0D73E9F4
	v_mfma_f32_16x16x16_bf16 v[92:95], a[246:247], v[246:247], v[92:95]// 000000009724: D3E1005C 0D73EDF6
	v_mfma_f32_16x16x16_bf16 v[92:95], a[248:249], v[248:249], v[92:95]// 00000000972C: D3E1005C 0D73F1F8
	buffer_load_dwordx4 a[124:127], v25, s[12:15], 0 offen offset:3072// 000000009734: E05C1C00 80837C19
	v_mfma_f32_16x16x16_bf16 v[92:95], a[250:251], v[250:251], v[92:95]// 00000000973C: D3E1005C 0D73F5FA
	v_mfma_f32_16x16x16_bf16 v[92:95], a[252:253], v[252:253], v[92:95]// 000000009744: D3E1005C 0D73F9FC
	s_mov_b64 exec, s[30:31]                                   // 00000000974C: BEFE011E
	global_atomic_pk_add_bf16 v48, v17, s[8:9]                 // 000000009750: DD488000 00081130
	s_mov_b64 exec, s[38:39]                                   // 000000009758: BEFE0126
	s_add_u32 s12, s56, s12                                    // 00000000975C: 800C0C38
	s_addc_u32 s13, 0, s13                                     // 000000009760: 820D0D80
	v_mfma_f32_16x16x16_bf16 v[92:95], a[254:255], v[254:255], v[92:95]// 000000009764: D3E1005C 0D73FDFE
	s_add_u32 s8, s59, s8                                      // 00000000976C: 8008083B
	s_addc_u32 s9, 0, s9                                       // 000000009770: 82090980
	v_mul_f32_e32 v80, v8, v80                                 // 000000009774: 0AA0A108
	v_mul_f32_e32 v81, v8, v81                                 // 000000009778: 0AA2A308
	v_mul_f32_e32 v82, v8, v82                                 // 00000000977C: 0AA4A508
	v_mul_f32_e32 v83, v8, v83                                 // 000000009780: 0AA6A708
	v_mul_f32_e32 v84, v9, v84                                 // 000000009784: 0AA8A909
	v_mul_f32_e32 v85, v9, v85                                 // 000000009788: 0AAAAB09
	v_mul_f32_e32 v86, v9, v86                                 // 00000000978C: 0AACAD09
	v_mul_f32_e32 v87, v9, v87                                 // 000000009790: 0AAEAF09
	v_mul_f32_e32 v88, v8, v88                                 // 000000009794: 0AB0B108
	v_mul_f32_e32 v89, v8, v89                                 // 000000009798: 0AB2B308
	v_mul_f32_e32 v90, v8, v90                                 // 00000000979C: 0AB4B508
	v_mul_f32_e32 v91, v8, v91                                 // 0000000097A0: 0AB6B708
	v_mul_f32_e32 v92, v9, v92                                 // 0000000097A4: 0AB8B909
	v_mul_f32_e32 v93, v9, v93                                 // 0000000097A8: 0ABABB09
	v_mul_f32_e32 v94, v9, v94                                 // 0000000097AC: 0ABCBD09
	v_mul_f32_e32 v95, v9, v95                                 // 0000000097B0: 0ABEBF09
	v_cmp_u_f32_e64 s[34:35], v80, v80                         // 0000000097B4: D0480022 0002A150
	v_add3_u32 v50, v80, v53, 1                                // 0000000097BC: D1FF0032 02066B50
	v_cndmask_b32_e64 v54, v50, v52, s[34:35]                  // 0000000097C4: D1000036 008A6932
	v_cmp_u_f32_e64 s[34:35], v81, v81                         // 0000000097CC: D0480022 0002A351
	v_add3_u32 v50, v81, v53, 1                                // 0000000097D4: D1FF0032 02066B51
	v_cndmask_b32_e64 v55, v50, v52, s[34:35]                  // 0000000097DC: D1000037 008A6932
	v_perm_b32 v80, v55, v54, s52                              // 0000000097E4: D1ED0050 00D26D37
	v_cmp_u_f32_e64 s[34:35], v82, v82                         // 0000000097EC: D0480022 0002A552
	v_add3_u32 v50, v82, v53, 1                                // 0000000097F4: D1FF0032 02066B52
	v_cndmask_b32_e64 v54, v50, v52, s[34:35]                  // 0000000097FC: D1000036 008A6932
	v_cmp_u_f32_e64 s[34:35], v83, v83                         // 000000009804: D0480022 0002A753
	v_add3_u32 v50, v83, v53, 1                                // 00000000980C: D1FF0032 02066B53
	v_cndmask_b32_e64 v55, v50, v52, s[34:35]                  // 000000009814: D1000037 008A6932
	v_perm_b32 v81, v55, v54, s52                              // 00000000981C: D1ED0051 00D26D37
	v_cmp_u_f32_e64 s[34:35], v84, v84                         // 000000009824: D0480022 0002A954
	v_add3_u32 v50, v84, v53, 1                                // 00000000982C: D1FF0032 02066B54
	v_cndmask_b32_e64 v54, v50, v52, s[34:35]                  // 000000009834: D1000036 008A6932
	v_cmp_u_f32_e64 s[34:35], v85, v85                         // 00000000983C: D0480022 0002AB55
	v_add3_u32 v50, v85, v53, 1                                // 000000009844: D1FF0032 02066B55
	v_cndmask_b32_e64 v55, v50, v52, s[34:35]                  // 00000000984C: D1000037 008A6932
	v_perm_b32 v82, v55, v54, s52                              // 000000009854: D1ED0052 00D26D37
	v_cmp_u_f32_e64 s[34:35], v86, v86                         // 00000000985C: D0480022 0002AD56
	v_add3_u32 v50, v86, v53, 1                                // 000000009864: D1FF0032 02066B56
	v_cndmask_b32_e64 v54, v50, v52, s[34:35]                  // 00000000986C: D1000036 008A6932
	v_cmp_u_f32_e64 s[34:35], v87, v87                         // 000000009874: D0480022 0002AF57
	v_add3_u32 v50, v87, v53, 1                                // 00000000987C: D1FF0032 02066B57
	v_cndmask_b32_e64 v55, v50, v52, s[34:35]                  // 000000009884: D1000037 008A6932
	v_perm_b32 v83, v55, v54, s52                              // 00000000988C: D1ED0053 00D26D37
	v_cmp_u_f32_e64 s[34:35], v88, v88                         // 000000009894: D0480022 0002B158
	v_add3_u32 v50, v88, v53, 1                                // 00000000989C: D1FF0032 02066B58
	v_cndmask_b32_e64 v54, v50, v52, s[34:35]                  // 0000000098A4: D1000036 008A6932
	v_cmp_u_f32_e64 s[34:35], v89, v89                         // 0000000098AC: D0480022 0002B359
	v_add3_u32 v50, v89, v53, 1                                // 0000000098B4: D1FF0032 02066B59
	v_cndmask_b32_e64 v55, v50, v52, s[34:35]                  // 0000000098BC: D1000037 008A6932
	v_perm_b32 v84, v55, v54, s52                              // 0000000098C4: D1ED0054 00D26D37
	v_cmp_u_f32_e64 s[34:35], v90, v90                         // 0000000098CC: D0480022 0002B55A
	v_add3_u32 v50, v90, v53, 1                                // 0000000098D4: D1FF0032 02066B5A
	v_cndmask_b32_e64 v54, v50, v52, s[34:35]                  // 0000000098DC: D1000036 008A6932
	v_cmp_u_f32_e64 s[34:35], v91, v91                         // 0000000098E4: D0480022 0002B75B
	v_add3_u32 v50, v91, v53, 1                                // 0000000098EC: D1FF0032 02066B5B
	v_cndmask_b32_e64 v55, v50, v52, s[34:35]                  // 0000000098F4: D1000037 008A6932
	v_perm_b32 v85, v55, v54, s52                              // 0000000098FC: D1ED0055 00D26D37
	v_cmp_u_f32_e64 s[34:35], v92, v92                         // 000000009904: D0480022 0002B95C
	v_add3_u32 v50, v92, v53, 1                                // 00000000990C: D1FF0032 02066B5C
	v_cndmask_b32_e64 v54, v50, v52, s[34:35]                  // 000000009914: D1000036 008A6932
	v_cmp_u_f32_e64 s[34:35], v93, v93                         // 00000000991C: D0480022 0002BB5D
	v_add3_u32 v50, v93, v53, 1                                // 000000009924: D1FF0032 02066B5D
	v_cndmask_b32_e64 v55, v50, v52, s[34:35]                  // 00000000992C: D1000037 008A6932
	v_perm_b32 v86, v55, v54, s52                              // 000000009934: D1ED0056 00D26D37
	v_cmp_u_f32_e64 s[34:35], v94, v94                         // 00000000993C: D0480022 0002BD5E
	v_add3_u32 v50, v94, v53, 1                                // 000000009944: D1FF0032 02066B5E
	v_cndmask_b32_e64 v54, v50, v52, s[34:35]                  // 00000000994C: D1000036 008A6932
	v_cmp_u_f32_e64 s[34:35], v95, v95                         // 000000009954: D0480022 0002BF5F
	v_add3_u32 v50, v95, v53, 1                                // 00000000995C: D1FF0032 02066B5F
	v_cndmask_b32_e64 v55, v50, v52, s[34:35]                  // 000000009964: D1000037 008A6932
	v_perm_b32 v87, v55, v54, s52                              // 00000000996C: D1ED0057 00D26D37
	s_addk_i32 s80, 0x80                                       // 000000009974: B7500080
	s_cmp_lt_i32 s80, s81                                      // 000000009978: BF045150
	s_cbranch_scc0 label_0ED8                                  // 00000000997C: BF84F338
	s_branch label_1782                                        // 000000009980: BF82FBE1

0000000000009984 <label_1BA1>:
	s_waitcnt lgkmcnt(0)                                       // 000000009984: BF8CC07F
	s_barrier                                                  // 000000009988: BF8A0000
	ds_read_b32 v10, v4 offset:16640                           // 00000000998C: D86C4100 0A000004
	ds_read_b32 v11, v4 offset:16672                           // 000000009994: D86C4120 0B000004
	ds_read_b32 v12, v4 offset:16704                           // 00000000999C: D86C4140 0C000004
	ds_read_b32 v13, v4 offset:16736                           // 0000000099A4: D86C4160 0D000004
	ds_read_b32 v14, v4 offset:20992                           // 0000000099AC: D86C5200 0E000004
	ds_read_b32 v15, v4 offset:21024                           // 0000000099B4: D86C5220 0F000004
	ds_read_b32 v16, v4 offset:21056                           // 0000000099BC: D86C5240 10000004
	ds_read_b32 v17, v4 offset:21088                           // 0000000099C4: D86C5260 11000004
	s_waitcnt lgkmcnt(0)                                       // 0000000099CC: BF8CC07F
	s_mov_b64 exec, s[16:17]                                   // 0000000099D0: BEFE0110
	global_atomic_pk_add_bf16 v34, v10, s[8:9]                 // 0000000099D4: DD488000 00080A22
	s_mov_b64 exec, s[38:39]                                   // 0000000099DC: BEFE0126
	s_mov_b64 exec, s[18:19]                                   // 0000000099E0: BEFE0112
	global_atomic_pk_add_bf16 v36, v11, s[8:9]                 // 0000000099E4: DD488000 00080B24
	s_mov_b64 exec, s[38:39]                                   // 0000000099EC: BEFE0126
	s_mov_b64 exec, s[20:21]                                   // 0000000099F0: BEFE0114
	global_atomic_pk_add_bf16 v38, v12, s[8:9]                 // 0000000099F4: DD488000 00080C26
	s_mov_b64 exec, s[38:39]                                   // 0000000099FC: BEFE0126
	s_mov_b64 exec, s[22:23]                                   // 000000009A00: BEFE0116
	global_atomic_pk_add_bf16 v40, v13, s[8:9]                 // 000000009A04: DD488000 00080D28
	s_mov_b64 exec, s[38:39]                                   // 000000009A0C: BEFE0126
	s_mov_b64 exec, s[24:25]                                   // 000000009A10: BEFE0118
	global_atomic_pk_add_bf16 v42, v14, s[8:9]                 // 000000009A14: DD488000 00080E2A
	s_mov_b64 exec, s[38:39]                                   // 000000009A1C: BEFE0126
	s_mov_b64 exec, s[26:27]                                   // 000000009A20: BEFE011A
	global_atomic_pk_add_bf16 v44, v15, s[8:9]                 // 000000009A24: DD488000 00080F2C
	s_mov_b64 exec, s[38:39]                                   // 000000009A2C: BEFE0126
	s_mov_b64 exec, s[28:29]                                   // 000000009A30: BEFE011C
	global_atomic_pk_add_bf16 v46, v16, s[8:9]                 // 000000009A34: DD488000 0008102E
	s_mov_b64 exec, s[38:39]                                   // 000000009A3C: BEFE0126
	s_mov_b64 exec, s[30:31]                                   // 000000009A40: BEFE011E
	global_atomic_pk_add_bf16 v48, v17, s[8:9]                 // 000000009A44: DD488000 00081130
	s_mov_b64 exec, s[38:39]                                   // 000000009A4C: BEFE0126
	s_add_u32 s8, s59, s8                                      // 000000009A50: 8008083B
	s_addc_u32 s9, 0, s9                                       // 000000009A54: 82090980
	ds_write_b64 v3, v[80:81] offset:25344                     // 000000009A58: D89A6300 00005003
	ds_write_b64 v3, v[82:83] offset:29696                     // 000000009A60: D89A7400 00005203
	ds_write_b64 v3, v[84:85] offset:27520                     // 000000009A68: D89A6B80 00005403
	ds_write_b64 v3, v[86:87] offset:31872                     // 000000009A70: D89A7C80 00005603
	s_waitcnt lgkmcnt(0)                                       // 000000009A78: BF8CC07F
	s_barrier                                                  // 000000009A7C: BF8A0000
	ds_read_b32 v10, v4 offset:25344                           // 000000009A80: D86C6300 0A000004
	ds_read_b32 v11, v4 offset:25376                           // 000000009A88: D86C6320 0B000004
	ds_read_b32 v12, v4 offset:25408                           // 000000009A90: D86C6340 0C000004
	ds_read_b32 v13, v4 offset:25440                           // 000000009A98: D86C6360 0D000004
	ds_read_b32 v14, v4 offset:29696                           // 000000009AA0: D86C7400 0E000004
	ds_read_b32 v15, v4 offset:29728                           // 000000009AA8: D86C7420 0F000004
	ds_read_b32 v16, v4 offset:29760                           // 000000009AB0: D86C7440 10000004
	ds_read_b32 v17, v4 offset:29792                           // 000000009AB8: D86C7460 11000004
	s_waitcnt lgkmcnt(0)                                       // 000000009AC0: BF8CC07F
	s_mov_b64 exec, s[16:17]                                   // 000000009AC4: BEFE0110
	global_atomic_pk_add_bf16 v34, v10, s[8:9]                 // 000000009AC8: DD488000 00080A22
	s_mov_b64 exec, s[38:39]                                   // 000000009AD0: BEFE0126
	s_mov_b64 exec, s[18:19]                                   // 000000009AD4: BEFE0112
	global_atomic_pk_add_bf16 v36, v11, s[8:9]                 // 000000009AD8: DD488000 00080B24
	s_mov_b64 exec, s[38:39]                                   // 000000009AE0: BEFE0126
	s_mov_b64 exec, s[20:21]                                   // 000000009AE4: BEFE0114
	global_atomic_pk_add_bf16 v38, v12, s[8:9]                 // 000000009AE8: DD488000 00080C26
	s_mov_b64 exec, s[38:39]                                   // 000000009AF0: BEFE0126
	s_mov_b64 exec, s[22:23]                                   // 000000009AF4: BEFE0116
	global_atomic_pk_add_bf16 v40, v13, s[8:9]                 // 000000009AF8: DD488000 00080D28
	s_mov_b64 exec, s[38:39]                                   // 000000009B00: BEFE0126
	s_mov_b64 exec, s[24:25]                                   // 000000009B04: BEFE0118
	global_atomic_pk_add_bf16 v42, v14, s[8:9]                 // 000000009B08: DD488000 00080E2A
	s_mov_b64 exec, s[38:39]                                   // 000000009B10: BEFE0126
	s_mov_b64 exec, s[26:27]                                   // 000000009B14: BEFE011A
	global_atomic_pk_add_bf16 v44, v15, s[8:9]                 // 000000009B18: DD488000 00080F2C
	s_mov_b64 exec, s[38:39]                                   // 000000009B20: BEFE0126
	s_mov_b64 exec, s[28:29]                                   // 000000009B24: BEFE011C
	global_atomic_pk_add_bf16 v46, v16, s[8:9]                 // 000000009B28: DD488000 0008102E
	s_mov_b64 exec, s[38:39]                                   // 000000009B30: BEFE0126
	s_mov_b64 exec, s[30:31]                                   // 000000009B34: BEFE011E
	global_atomic_pk_add_bf16 v48, v17, s[8:9]                 // 000000009B38: DD488000 00081130
	s_mov_b64 exec, s[38:39]                                   // 000000009B40: BEFE0126

0000000000009b44 <label_1C11>:
	s_waitcnt vmcnt(0) expcnt(0) lgkmcnt(0)                    // 000000009B44: BF8C0000
	s_endpgm                                                   // 000000009B48: BF810000
